;; amdgpu-corpus repo=ROCm/rocFFT kind=compiled arch=gfx1030 opt=O3
	.text
	.amdgcn_target "amdgcn-amd-amdhsa--gfx1030"
	.amdhsa_code_object_version 6
	.protected	bluestein_single_back_len1078_dim1_dp_op_CI_CI ; -- Begin function bluestein_single_back_len1078_dim1_dp_op_CI_CI
	.globl	bluestein_single_back_len1078_dim1_dp_op_CI_CI
	.p2align	8
	.type	bluestein_single_back_len1078_dim1_dp_op_CI_CI,@function
bluestein_single_back_len1078_dim1_dp_op_CI_CI: ; @bluestein_single_back_len1078_dim1_dp_op_CI_CI
; %bb.0:
	s_load_dwordx4 s[12:15], s[4:5], 0x28
	v_mul_u32_u24_e32 v1, 0x354, v0
	s_mov_b64 s[42:43], s[2:3]
	s_mov_b64 s[40:41], s[0:1]
	s_add_u32 s40, s40, s7
	v_lshrrev_b32_e32 v1, 16, v1
	s_addc_u32 s41, s41, 0
	v_mad_u64_u32 v[88:89], null, s6, 3, v[1:2]
	v_mov_b32_e32 v89, 0
                                        ; kill: def $vgpr2 killed $sgpr0 killed $exec
	s_mov_b32 s0, exec_lo
	s_waitcnt lgkmcnt(0)
	v_cmpx_gt_u64_e64 s[12:13], v[88:89]
	s_cbranch_execz .LBB0_10
; %bb.1:
	s_clause 0x1
	s_load_dwordx4 s[8:11], s[4:5], 0x18
	s_load_dwordx4 s[0:3], s[4:5], 0x0
	v_mul_lo_u16 v1, 0x4d, v1
	s_load_dwordx2 s[4:5], s[4:5], 0x38
	v_sub_nc_u16 v16, v0, v1
	v_and_b32_e32 v87, 0xffff, v16
	v_lshlrev_b32_e32 v0, 4, v87
	s_waitcnt lgkmcnt(0)
	s_load_dwordx4 s[16:19], s[8:9], 0x0
	s_clause 0x1
	global_load_dwordx4 v[79:82], v0, s[0:1]
	global_load_dwordx4 v[83:86], v0, s[0:1] offset:1232
	v_add_co_u32 v15, s6, s0, v0
	v_add_co_ci_u32_e64 v19, null, s1, 0, s6
	v_add_co_u32 v1, vcc_lo, 0x2000, v15
	v_add_co_ci_u32_e32 v2, vcc_lo, 0, v19, vcc_lo
	v_add_co_u32 v3, vcc_lo, 0x800, v15
	v_add_co_ci_u32_e32 v4, vcc_lo, 0, v19, vcc_lo
	;; [unrolled: 2-line block ×4, first 2 shown]
	v_add_co_u32 v9, vcc_lo, 0x1000, v15
	s_waitcnt lgkmcnt(0)
	v_mad_u64_u32 v[11:12], null, s18, v88, 0
	v_mad_u64_u32 v[17:18], null, s16, v87, 0
	v_add_co_ci_u32_e32 v10, vcc_lo, 0, v19, vcc_lo
	v_add_co_u32 v13, vcc_lo, 0x1800, v15
	s_clause 0x2
	global_load_dwordx4 v[89:92], v[1:2], off offset:432
	global_load_dwordx4 v[141:144], v[1:2], off offset:1664
	;; [unrolled: 1-line block ×3, first 2 shown]
	v_add_co_ci_u32_e32 v14, vcc_lo, 0, v19, vcc_lo
	v_mov_b32_e32 v1, v18
	v_mad_u64_u32 v[5:6], null, s19, v88, v[12:13]
	v_add_co_u32 v57, vcc_lo, 0x3800, v15
	v_mad_u64_u32 v[1:2], null, s17, v87, v[1:2]
	v_add_co_ci_u32_e32 v58, vcc_lo, 0, v19, vcc_lo
	v_mov_b32_e32 v12, v5
	s_clause 0x1
	global_load_dwordx4 v[129:132], v[3:4], off offset:416
	global_load_dwordx4 v[121:124], v[3:4], off offset:1648
	s_mul_i32 s6, s17, 0x21b0
	s_mul_hi_u32 s7, s16, 0x21b0
	v_mov_b32_e32 v18, v1
	v_lshlrev_b64 v[1:2], 4, v[11:12]
	s_mul_i32 s8, s16, 0x21b0
	s_add_i32 s7, s7, s6
	s_mul_hi_u32 s12, s16, 0xffffe320
	v_lshlrev_b64 v[3:4], 4, v[17:18]
	s_mul_i32 s9, s17, 0xffffe320
	v_add_co_u32 v1, vcc_lo, s14, v1
	v_add_co_ci_u32_e32 v2, vcc_lo, s15, v2, vcc_lo
	s_mul_i32 s13, s16, 0xffffe320
	v_add_co_u32 v1, vcc_lo, v1, v3
	v_add_co_ci_u32_e32 v2, vcc_lo, v2, v4, vcc_lo
	s_sub_i32 s6, s12, s16
	v_add_co_u32 v5, vcc_lo, v1, s8
	v_add_co_ci_u32_e32 v6, vcc_lo, s7, v2, vcc_lo
	s_clause 0x2
	global_load_dwordx4 v[109:112], v[9:10], off offset:832
	global_load_dwordx4 v[117:120], v[7:8], off offset:32
	;; [unrolled: 1-line block ×3, first 2 shown]
	s_add_i32 s6, s6, s9
	v_add_co_u32 v9, vcc_lo, v5, s13
	v_add_co_ci_u32_e32 v10, vcc_lo, s6, v6, vcc_lo
	global_load_dwordx4 v[113:116], v[13:14], off offset:16
	v_add_co_u32 v17, vcc_lo, v9, s8
	v_add_co_ci_u32_e32 v18, vcc_lo, s7, v10, vcc_lo
	s_clause 0x1
	global_load_dwordx4 v[1:4], v[1:2], off
	global_load_dwordx4 v[5:8], v[5:6], off
	v_add_co_u32 v21, vcc_lo, v17, s13
	v_add_co_ci_u32_e32 v22, vcc_lo, s6, v18, vcc_lo
	s_clause 0x1
	global_load_dwordx4 v[9:12], v[9:10], off
	global_load_dwordx4 v[17:20], v[17:18], off
	v_add_co_u32 v25, vcc_lo, v21, s8
	v_add_co_ci_u32_e32 v26, vcc_lo, s7, v22, vcc_lo
	global_load_dwordx4 v[21:24], v[21:22], off
	v_add_co_u32 v29, vcc_lo, v25, s13
	v_add_co_ci_u32_e32 v30, vcc_lo, s6, v26, vcc_lo
	;; [unrolled: 3-line block ×9, first 2 shown]
	global_load_dwordx4 v[133:136], v[57:58], off offset:448
	global_load_dwordx4 v[53:56], v[53:54], off
	s_clause 0x1
	global_load_dwordx4 v[137:140], v[13:14], off offset:1248
	global_load_dwordx4 v[145:148], v[57:58], off offset:1680
	global_load_dwordx4 v[57:60], v[59:60], off
	v_mul_hi_u32 v13, 0xaaaaaaab, v88
	v_cmp_gt_u16_e32 vcc_lo, 21, v16
	v_lshrrev_b32_e32 v15, 1, v13
	v_lshl_add_u32 v15, v15, 1, v15
	v_sub_nc_u32_e32 v15, v88, v15
	v_mul_u32_u24_e32 v15, 0x436, v15
	v_lshlrev_b32_e32 v149, 4, v15
	s_waitcnt vmcnt(16)
	v_mul_f64 v[13:14], v[3:4], v[81:82]
	s_waitcnt vmcnt(15)
	v_mul_f64 v[63:64], v[7:8], v[91:92]
	v_mul_f64 v[61:62], v[1:2], v[81:82]
	;; [unrolled: 1-line block ×3, first 2 shown]
	s_waitcnt vmcnt(14)
	v_mul_f64 v[67:68], v[11:12], v[85:86]
	v_mul_f64 v[69:70], v[9:10], v[85:86]
	s_waitcnt vmcnt(13)
	v_mul_f64 v[71:72], v[19:20], v[143:144]
	v_mul_f64 v[73:74], v[17:18], v[143:144]
	;; [unrolled: 3-line block ×3, first 2 shown]
	v_fma_f64 v[1:2], v[1:2], v[79:80], v[13:14]
	buffer_store_dword v79, off, s[40:43], 0 offset:8 ; 4-byte Folded Spill
	buffer_store_dword v80, off, s[40:43], 0 offset:12 ; 4-byte Folded Spill
	;; [unrolled: 1-line block ×4, first 2 shown]
	v_fma_f64 v[5:6], v[5:6], v[89:90], v[63:64]
	buffer_store_dword v89, off, s[40:43], 0 offset:216 ; 4-byte Folded Spill
	buffer_store_dword v90, off, s[40:43], 0 offset:220 ; 4-byte Folded Spill
	;; [unrolled: 1-line block ×4, first 2 shown]
	s_waitcnt vmcnt(11)
	v_mul_f64 v[13:14], v[27:28], v[127:128]
	v_fma_f64 v[9:10], v[9:10], v[83:84], v[67:68]
	buffer_store_dword v83, off, s[40:43], 0 offset:24 ; 4-byte Folded Spill
	buffer_store_dword v84, off, s[40:43], 0 offset:28 ; 4-byte Folded Spill
	;; [unrolled: 1-line block ×4, first 2 shown]
	s_waitcnt vmcnt(10)
	v_mul_f64 v[63:64], v[31:32], v[123:124]
	s_waitcnt vmcnt(9)
	v_mul_f64 v[67:68], v[35:36], v[119:120]
	v_fma_f64 v[17:18], v[17:18], v[141:142], v[71:72]
	buffer_store_dword v141, off, s[40:43], 0 offset:184 ; 4-byte Folded Spill
	buffer_store_dword v142, off, s[40:43], 0 offset:188 ; 4-byte Folded Spill
	;; [unrolled: 1-line block ×4, first 2 shown]
	v_fma_f64 v[21:22], v[21:22], v[129:130], v[75:76]
	buffer_store_dword v129, off, s[40:43], 0 offset:136 ; 4-byte Folded Spill
	buffer_store_dword v130, off, s[40:43], 0 offset:140 ; 4-byte Folded Spill
	;; [unrolled: 1-line block ×4, first 2 shown]
	s_waitcnt vmcnt(8)
	v_mul_f64 v[81:82], v[37:38], v[111:112]
	s_waitcnt vmcnt(7)
	v_mul_f64 v[85:86], v[41:42], v[107:108]
	;; [unrolled: 2-line block ×4, first 2 shown]
	v_mul_f64 v[95:96], v[49:50], v[135:136]
	s_waitcnt vmcnt(2)
	v_mul_f64 v[97:98], v[55:56], v[139:140]
	v_mul_f64 v[99:100], v[53:54], v[139:140]
	s_waitcnt vmcnt(0)
	v_mul_f64 v[101:102], v[59:60], v[147:148]
	v_mul_f64 v[103:104], v[57:58], v[147:148]
	v_fma_f64 v[49:50], v[49:50], v[133:134], v[93:94]
	v_fma_f64 v[53:54], v[53:54], v[137:138], v[97:98]
	;; [unrolled: 1-line block ×3, first 2 shown]
	v_fma_f64 v[3:4], v[3:4], v[79:80], -v[61:62]
	v_mul_f64 v[79:80], v[39:40], v[111:112]
	v_fma_f64 v[7:8], v[7:8], v[89:90], -v[65:66]
	v_mul_f64 v[89:90], v[47:48], v[115:116]
	v_mul_f64 v[61:62], v[25:26], v[127:128]
	v_fma_f64 v[11:12], v[11:12], v[83:84], -v[69:70]
	v_mul_f64 v[83:84], v[43:44], v[107:108]
	v_fma_f64 v[25:26], v[25:26], v[125:126], v[13:14]
	buffer_store_dword v125, off, s[40:43], 0 offset:120 ; 4-byte Folded Spill
	buffer_store_dword v126, off, s[40:43], 0 offset:124 ; 4-byte Folded Spill
	buffer_store_dword v127, off, s[40:43], 0 offset:128 ; 4-byte Folded Spill
	buffer_store_dword v128, off, s[40:43], 0 offset:132 ; 4-byte Folded Spill
	v_mul_f64 v[65:66], v[29:30], v[123:124]
	v_fma_f64 v[29:30], v[29:30], v[121:122], v[63:64]
	buffer_store_dword v121, off, s[40:43], 0 offset:104 ; 4-byte Folded Spill
	buffer_store_dword v122, off, s[40:43], 0 offset:108 ; 4-byte Folded Spill
	buffer_store_dword v123, off, s[40:43], 0 offset:112 ; 4-byte Folded Spill
	buffer_store_dword v124, off, s[40:43], 0 offset:116 ; 4-byte Folded Spill
	;; [unrolled: 6-line block ×3, first 2 shown]
	v_fma_f64 v[19:20], v[19:20], v[141:142], -v[73:74]
	v_fma_f64 v[23:24], v[23:24], v[129:130], -v[77:78]
	v_fma_f64 v[37:38], v[37:38], v[109:110], v[79:80]
	buffer_store_dword v109, off, s[40:43], 0 offset:56 ; 4-byte Folded Spill
	buffer_store_dword v110, off, s[40:43], 0 offset:60 ; 4-byte Folded Spill
	;; [unrolled: 1-line block ×4, first 2 shown]
	v_fma_f64 v[45:46], v[45:46], v[113:114], v[89:90]
	v_lshl_add_u32 v89, v87, 5, v149
	v_fma_f64 v[41:42], v[41:42], v[105:106], v[83:84]
	buffer_store_dword v105, off, s[40:43], 0 offset:40 ; 4-byte Folded Spill
	buffer_store_dword v106, off, s[40:43], 0 offset:44 ; 4-byte Folded Spill
	;; [unrolled: 1-line block ×20, first 2 shown]
	s_load_dwordx4 s[8:11], s[10:11], 0x0
	v_fma_f64 v[27:28], v[27:28], v[125:126], -v[61:62]
	v_fma_f64 v[31:32], v[31:32], v[121:122], -v[65:66]
	;; [unrolled: 1-line block ×9, first 2 shown]
	v_add_nc_u32_e32 v91, v0, v149
	ds_write_b128 v91, v[1:4]
	ds_write_b128 v91, v[5:8] offset:8624
	ds_write_b128 v91, v[9:12] offset:1232
	;; [unrolled: 1-line block ×13, first 2 shown]
	s_waitcnt lgkmcnt(0)
	s_waitcnt_vscnt null, 0x0
	s_barrier
	buffer_gl0_inv
	ds_read_b128 v[0:3], v91 offset:8624
	ds_read_b128 v[8:11], v91
	ds_read_b128 v[12:15], v91 offset:1232
	ds_read_b128 v[4:7], v91 offset:9856
	;; [unrolled: 1-line block ×12, first 2 shown]
	v_add_co_u32 v92, s6, 0x4d, v87
	buffer_store_dword v87, off, s[40:43], 0 ; 4-byte Folded Spill
	buffer_store_dword v149, off, s[40:43], 0 offset:4 ; 4-byte Folded Spill
	s_waitcnt lgkmcnt(0)
	s_waitcnt_vscnt null, 0x0
	s_barrier
	buffer_gl0_inv
	v_add_f64 v[57:58], v[8:9], -v[0:1]
	v_add_f64 v[59:60], v[10:11], -v[2:3]
	;; [unrolled: 1-line block ×14, first 2 shown]
	v_lshlrev_b16 v45, 1, v16
	v_and_b32_e32 v53, 0xffff, v45
	v_fma_f64 v[8:9], v[8:9], 2.0, -v[57:58]
	v_fma_f64 v[10:11], v[10:11], 2.0, -v[59:60]
	v_fma_f64 v[45:46], v[12:13], 2.0, -v[61:62]
	v_fma_f64 v[47:48], v[14:15], 2.0, -v[63:64]
	v_fma_f64 v[21:22], v[21:22], 2.0, -v[17:18]
	v_fma_f64 v[23:24], v[23:24], 2.0, -v[19:20]
	v_fma_f64 v[25:26], v[25:26], 2.0, -v[29:30]
	v_fma_f64 v[27:28], v[27:28], 2.0, -v[31:32]
	v_fma_f64 v[37:38], v[37:38], 2.0, -v[33:34]
	v_fma_f64 v[39:40], v[39:40], 2.0, -v[35:36]
	v_fma_f64 v[41:42], v[41:42], 2.0, -v[0:1]
	v_fma_f64 v[43:44], v[43:44], 2.0, -v[2:3]
	v_fma_f64 v[12:13], v[49:50], 2.0, -v[4:5]
	v_fma_f64 v[14:15], v[51:52], 2.0, -v[6:7]
	v_add_co_ci_u32_e64 v49, null, 0, 0, s6
	v_lshl_add_u32 v50, v53, 4, v149
	v_lshl_add_u32 v49, v92, 5, v149
	ds_write_b128 v50, v[57:60] offset:16
	ds_write_b128 v49, v[61:64] offset:16
	;; [unrolled: 1-line block ×7, first 2 shown]
	buffer_store_dword v50, off, s[40:43], 0 offset:236 ; 4-byte Folded Spill
	ds_write_b128 v50, v[8:11]
	buffer_store_dword v49, off, s[40:43], 0 offset:232 ; 4-byte Folded Spill
	ds_write_b128 v49, v[45:48]
	ds_write_b128 v89, v[21:24] offset:4928
	ds_write_b128 v89, v[25:28] offset:7392
	;; [unrolled: 1-line block ×5, first 2 shown]
	s_waitcnt lgkmcnt(0)
	s_waitcnt_vscnt null, 0x0
	s_barrier
	buffer_gl0_inv
	ds_read_b128 v[8:11], v91
	ds_read_b128 v[84:87], v91 offset:1568
	ds_read_b128 v[80:83], v91 offset:3136
	;; [unrolled: 1-line block ×10, first 2 shown]
                                        ; implicit-def: $vgpr40_vgpr41
                                        ; implicit-def: $vgpr44_vgpr45
                                        ; implicit-def: $vgpr24_vgpr25
                                        ; implicit-def: $vgpr28_vgpr29
                                        ; implicit-def: $vgpr32_vgpr33
                                        ; implicit-def: $vgpr36_vgpr37
                                        ; implicit-def: $vgpr16_vgpr17
                                        ; implicit-def: $vgpr20_vgpr21
	s_and_saveexec_b32 s6, vcc_lo
	s_cbranch_execz .LBB0_3
; %bb.2:
	ds_read_b128 v[0:3], v91 offset:1232
	ds_read_b128 v[12:15], v91 offset:2800
	;; [unrolled: 1-line block ×11, first 2 shown]
.LBB0_3:
	s_or_b32 exec_lo, exec_lo, s6
	buffer_load_dword v93, off, s[40:43], 0 ; 4-byte Folded Reload
	v_add_nc_u32_e32 v90, 0x1340, v89
	s_mov_b32 s24, 0xf8bb580b
	s_mov_b32 s36, 0x8eee2c13
	s_mov_b32 s20, 0x43842ef
	s_mov_b32 s22, 0xbb3a28a1
	buffer_store_dword v90, off, s[40:43], 0 offset:256 ; 4-byte Folded Spill
	v_add_nc_u32_e32 v90, 0x1ce0, v89
	s_mov_b32 s26, 0xfd768dbf
	s_mov_b32 s25, 0xbfe14ced
	s_mov_b32 s37, 0xbfed1bb4
	s_mov_b32 s21, 0xbfefac9e
	buffer_store_dword v90, off, s[40:43], 0 offset:252 ; 4-byte Folded Spill
	v_add_nc_u32_e32 v90, 0x2680, v89
	s_mov_b32 s23, 0xbfe82f19
	s_mov_b32 s27, 0xbfd207e7
	s_mov_b32 s6, 0x8764f0ba
	s_mov_b32 s14, 0xd9c712b6
	buffer_store_dword v90, off, s[40:43], 0 offset:248 ; 4-byte Folded Spill
	v_add_nc_u32_e32 v90, 0x3020, v89
	v_add_nc_u32_e32 v89, 0x39c0, v89
	s_mov_b32 s12, 0x640f44db
	s_mov_b32 s16, 0x7f775887
	;; [unrolled: 1-line block ×3, first 2 shown]
	buffer_store_dword v90, off, s[40:43], 0 offset:244 ; 4-byte Folded Spill
	buffer_store_dword v89, off, s[40:43], 0 offset:240 ; 4-byte Folded Spill
	s_mov_b32 s7, 0x3feaeb8c
	s_mov_b32 s15, 0x3fda9628
	;; [unrolled: 1-line block ×13, first 2 shown]
	s_waitcnt vmcnt(0)
	v_and_b32_e32 v89, 1, v93
	buffer_store_dword v89, off, s[40:43], 0 offset:260 ; 4-byte Folded Spill
	v_mul_u32_u24_e32 v89, 10, v89
	v_lshlrev_b32_e32 v132, 4, v89
	s_clause 0x9
	global_load_dwordx4 v[96:99], v132, s[2:3] offset:48
	global_load_dwordx4 v[104:107], v132, s[2:3] offset:32
	;; [unrolled: 1-line block ×3, first 2 shown]
	global_load_dwordx4 v[124:127], v132, s[2:3]
	global_load_dwordx4 v[100:103], v132, s[2:3] offset:112
	global_load_dwordx4 v[108:111], v132, s[2:3] offset:96
	;; [unrolled: 1-line block ×6, first 2 shown]
	s_waitcnt vmcnt(6) lgkmcnt(9)
	v_mul_f64 v[89:90], v[86:87], v[126:127]
	v_fma_f64 v[94:95], v[84:85], v[124:125], -v[89:90]
	v_mul_f64 v[84:85], v[84:85], v[126:127]
	v_fma_f64 v[166:167], v[86:87], v[124:125], v[84:85]
	s_waitcnt lgkmcnt(8)
	v_mul_f64 v[84:85], v[82:83], v[114:115]
	v_fma_f64 v[162:163], v[80:81], v[112:113], -v[84:85]
	v_mul_f64 v[80:81], v[80:81], v[114:115]
	v_fma_f64 v[156:157], v[82:83], v[112:113], v[80:81]
	s_waitcnt lgkmcnt(7)
	;; [unrolled: 5-line block ×3, first 2 shown]
	v_mul_f64 v[76:77], v[74:75], v[98:99]
	v_fma_f64 v[146:147], v[72:73], v[96:97], -v[76:77]
	v_mul_f64 v[72:73], v[72:73], v[98:99]
	v_fma_f64 v[142:143], v[74:75], v[96:97], v[72:73]
	s_waitcnt vmcnt(2) lgkmcnt(5)
	v_mul_f64 v[72:73], v[70:71], v[130:131]
	v_fma_f64 v[138:139], v[68:69], v[128:129], -v[72:73]
	v_mul_f64 v[68:69], v[68:69], v[130:131]
	v_fma_f64 v[89:90], v[70:71], v[128:129], v[68:69]
	s_waitcnt lgkmcnt(4)
	v_mul_f64 v[68:69], v[66:67], v[118:119]
	v_fma_f64 v[140:141], v[64:65], v[116:117], -v[68:69]
	v_mul_f64 v[64:65], v[64:65], v[118:119]
	v_fma_f64 v[136:137], v[66:67], v[116:117], v[64:65]
	s_waitcnt lgkmcnt(3)
	;; [unrolled: 5-line block ×3, first 2 shown]
	v_mul_f64 v[60:61], v[58:59], v[102:103]
	v_fma_f64 v[158:159], v[56:57], v[100:101], -v[60:61]
	v_mul_f64 v[56:57], v[56:57], v[102:103]
	v_fma_f64 v[152:153], v[58:59], v[100:101], v[56:57]
	s_waitcnt vmcnt(0) lgkmcnt(1)
	v_mul_f64 v[56:57], v[54:55], v[134:135]
	v_fma_f64 v[164:165], v[52:53], v[132:133], -v[56:57]
	v_mul_f64 v[52:53], v[52:53], v[134:135]
	v_fma_f64 v[160:161], v[54:55], v[132:133], v[52:53]
	s_waitcnt lgkmcnt(0)
	v_mul_f64 v[52:53], v[50:51], v[122:123]
	v_fma_f64 v[72:73], v[48:49], v[120:121], -v[52:53]
	v_mul_f64 v[48:49], v[48:49], v[122:123]
	v_fma_f64 v[74:75], v[50:51], v[120:121], v[48:49]
	v_and_b32_e32 v48, 1, v92
	buffer_store_dword v48, off, s[40:43], 0 offset:264 ; 4-byte Folded Spill
	v_mul_u32_u24_e32 v48, 10, v48
	v_lshlrev_b32_e32 v64, 4, v48
	s_clause 0x3
	global_load_dwordx4 v[50:53], v64, s[2:3] offset:48
	global_load_dwordx4 v[65:68], v64, s[2:3] offset:32
	;; [unrolled: 1-line block ×3, first 2 shown]
	global_load_dwordx4 v[58:61], v64, s[2:3]
	s_waitcnt vmcnt(0)
	v_mul_f64 v[48:49], v[14:15], v[60:61]
	v_fma_f64 v[56:57], v[12:13], v[58:59], -v[48:49]
	v_mul_f64 v[12:13], v[12:13], v[60:61]
	buffer_store_dword v58, off, s[40:43], 0 offset:380 ; 4-byte Folded Spill
	buffer_store_dword v59, off, s[40:43], 0 offset:384 ; 4-byte Folded Spill
	buffer_store_dword v60, off, s[40:43], 0 offset:388 ; 4-byte Folded Spill
	buffer_store_dword v61, off, s[40:43], 0 offset:392 ; 4-byte Folded Spill
	v_fma_f64 v[58:59], v[14:15], v[58:59], v[12:13]
	v_mul_f64 v[12:13], v[6:7], v[78:79]
	v_fma_f64 v[60:61], v[4:5], v[76:77], -v[12:13]
	v_mul_f64 v[4:5], v[4:5], v[78:79]
	buffer_store_dword v76, off, s[40:43], 0 offset:348 ; 4-byte Folded Spill
	buffer_store_dword v77, off, s[40:43], 0 offset:352 ; 4-byte Folded Spill
	buffer_store_dword v78, off, s[40:43], 0 offset:356 ; 4-byte Folded Spill
	buffer_store_dword v79, off, s[40:43], 0 offset:360 ; 4-byte Folded Spill
	v_fma_f64 v[62:63], v[6:7], v[76:77], v[4:5]
	;; [unrolled: 8-line block ×4, first 2 shown]
	s_clause 0x3
	global_load_dwordx4 v[65:68], v64, s[2:3] offset:112
	global_load_dwordx4 v[12:15], v64, s[2:3] offset:96
	;; [unrolled: 1-line block ×4, first 2 shown]
	s_waitcnt vmcnt(0)
	v_mul_f64 v[4:5], v[26:27], v[78:79]
	v_fma_f64 v[52:53], v[24:25], v[76:77], -v[4:5]
	v_mul_f64 v[4:5], v[24:25], v[78:79]
	buffer_store_dword v76, off, s[40:43], 0 offset:364 ; 4-byte Folded Spill
	buffer_store_dword v77, off, s[40:43], 0 offset:368 ; 4-byte Folded Spill
	;; [unrolled: 1-line block ×4, first 2 shown]
	v_fma_f64 v[54:55], v[26:27], v[76:77], v[4:5]
	v_mul_f64 v[4:5], v[30:31], v[50:51]
	v_fma_f64 v[46:47], v[28:29], v[48:49], -v[4:5]
	v_mul_f64 v[4:5], v[28:29], v[50:51]
	buffer_store_dword v48, off, s[40:43], 0 offset:316 ; 4-byte Folded Spill
	buffer_store_dword v49, off, s[40:43], 0 offset:320 ; 4-byte Folded Spill
	;; [unrolled: 1-line block ×4, first 2 shown]
	v_add_f64 v[238:239], v[52:53], v[46:47]
	v_add_f64 v[250:251], v[52:53], -v[46:47]
	v_mul_f64 v[244:245], v[250:251], s[26:27]
	v_mul_f64 v[248:249], v[250:251], s[30:31]
	v_fma_f64 v[50:51], v[30:31], v[48:49], v[4:5]
	v_mul_f64 v[4:5], v[34:35], v[14:15]
	v_add_f64 v[240:241], v[54:55], v[50:51]
	v_fma_f64 v[28:29], v[32:33], v[12:13], -v[4:5]
	v_mul_f64 v[4:5], v[32:33], v[14:15]
	buffer_store_dword v12, off, s[40:43], 0 offset:284 ; 4-byte Folded Spill
	buffer_store_dword v13, off, s[40:43], 0 offset:288 ; 4-byte Folded Spill
	;; [unrolled: 1-line block ×4, first 2 shown]
	v_fma_f64 v[30:31], v[34:35], v[12:13], v[4:5]
	v_mul_f64 v[4:5], v[38:39], v[67:68]
	v_add_f64 v[228:229], v[44:45], v[30:31]
	v_fma_f64 v[86:87], v[36:37], v[65:66], -v[4:5]
	v_mul_f64 v[4:5], v[36:37], v[67:68]
	buffer_store_dword v65, off, s[40:43], 0 offset:332 ; 4-byte Folded Spill
	buffer_store_dword v66, off, s[40:43], 0 offset:336 ; 4-byte Folded Spill
	;; [unrolled: 1-line block ×4, first 2 shown]
	s_clause 0x1
	global_load_dwordx4 v[12:15], v64, s[2:3] offset:144
	global_load_dwordx4 v[68:71], v64, s[2:3] offset:128
	v_fma_f64 v[26:27], v[38:39], v[65:66], v[4:5]
	v_mov_b32_e32 v66, v7
	v_mov_b32_e32 v65, v6
	v_add_f64 v[6:7], v[10:11], v[166:167]
	s_waitcnt vmcnt(0)
	v_mul_f64 v[4:5], v[18:19], v[70:71]
	v_add_f64 v[226:227], v[65:66], v[28:29]
	v_add_f64 v[216:217], v[42:43], v[26:27]
	;; [unrolled: 1-line block ×3, first 2 shown]
	v_fma_f64 v[34:35], v[16:17], v[68:69], -v[4:5]
	v_mul_f64 v[4:5], v[16:17], v[70:71]
	v_add_f64 v[16:17], v[94:95], -v[72:73]
	v_add_f64 v[6:7], v[6:7], v[148:149]
	v_add_f64 v[200:201], v[60:61], -v[34:35]
	v_fma_f64 v[36:37], v[18:19], v[68:69], v[4:5]
	v_mul_f64 v[4:5], v[22:23], v[14:15]
	v_add_f64 v[18:19], v[166:167], -v[74:75]
	v_mul_f64 v[80:81], v[16:17], s[36:37]
	v_mul_f64 v[168:169], v[16:17], s[20:21]
	;; [unrolled: 1-line block ×3, first 2 shown]
	v_add_f64 v[6:7], v[6:7], v[142:143]
	v_add_f64 v[202:203], v[62:63], -v[36:37]
	v_fma_f64 v[32:33], v[20:21], v[12:13], -v[4:5]
	v_mul_f64 v[4:5], v[20:21], v[14:15]
	buffer_store_dword v12, off, s[40:43], 0 offset:396 ; 4-byte Folded Spill
	buffer_store_dword v13, off, s[40:43], 0 offset:400 ; 4-byte Folded Spill
	buffer_store_dword v14, off, s[40:43], 0 offset:404 ; 4-byte Folded Spill
	buffer_store_dword v15, off, s[40:43], 0 offset:408 ; 4-byte Folded Spill
	v_mul_f64 v[76:77], v[18:19], s[36:37]
	v_mul_f64 v[172:173], v[18:19], s[22:23]
	v_add_f64 v[14:15], v[166:167], v[74:75]
	s_waitcnt_vscnt null, 0x0
	s_barrier
	buffer_gl0_inv
	buffer_load_dword v64, off, s[40:43], 0 offset:4 ; 4-byte Folded Reload
	v_add_f64 v[6:7], v[6:7], v[89:90]
	v_fma_f64 v[82:83], v[14:15], s[14:15], v[80:81]
	v_fma_f64 v[80:81], v[14:15], s[14:15], -v[80:81]
	v_fma_f64 v[170:171], v[14:15], s[12:13], v[168:169]
	v_fma_f64 v[168:169], v[14:15], s[12:13], -v[168:169]
	;; [unrolled: 2-line block ×3, first 2 shown]
	v_add_f64 v[6:7], v[6:7], v[136:137]
	v_add_f64 v[82:83], v[10:11], v[82:83]
	;; [unrolled: 1-line block ×11, first 2 shown]
	v_fma_f64 v[20:21], v[22:23], v[12:13], v[4:5]
	v_add_f64 v[4:5], v[8:9], v[94:95]
	v_add_f64 v[12:13], v[94:95], v[72:73]
	v_mul_f64 v[22:23], v[18:19], s[24:25]
	v_mul_f64 v[94:95], v[18:19], s[20:21]
	v_mul_f64 v[18:19], v[18:19], s[26:27]
	v_add_f64 v[4:5], v[4:5], v[162:163]
	v_fma_f64 v[78:79], v[12:13], s[14:15], -v[76:77]
	v_fma_f64 v[38:39], v[12:13], s[6:7], -v[22:23]
	v_fma_f64 v[22:23], v[12:13], s[6:7], v[22:23]
	v_fma_f64 v[76:77], v[12:13], s[14:15], v[76:77]
	v_fma_f64 v[166:167], v[12:13], s[12:13], -v[94:95]
	v_fma_f64 v[94:95], v[12:13], s[12:13], v[94:95]
	v_fma_f64 v[174:175], v[12:13], s[16:17], -v[172:173]
	;; [unrolled: 2-line block ×3, first 2 shown]
	v_fma_f64 v[12:13], v[12:13], s[18:19], v[18:19]
	v_add_f64 v[18:19], v[156:157], -v[160:161]
	v_add_f64 v[4:5], v[4:5], v[154:155]
	v_add_f64 v[78:79], v[8:9], v[78:79]
	;; [unrolled: 1-line block ×18, first 2 shown]
	v_mul_f64 v[72:73], v[16:17], s[24:25]
	v_mul_f64 v[16:17], v[16:17], s[26:27]
	v_fma_f64 v[74:75], v[14:15], s[6:7], v[72:73]
	v_fma_f64 v[72:73], v[14:15], s[6:7], -v[72:73]
	v_fma_f64 v[182:183], v[14:15], s[18:19], v[16:17]
	v_fma_f64 v[12:13], v[14:15], s[18:19], -v[16:17]
	v_add_f64 v[14:15], v[156:157], v[160:161]
	v_mul_f64 v[156:157], v[18:19], s[36:37]
	v_add_f64 v[16:17], v[162:163], -v[164:165]
	v_add_f64 v[74:75], v[10:11], v[74:75]
	v_add_f64 v[72:73], v[10:11], v[72:73]
	;; [unrolled: 1-line block ×5, first 2 shown]
	v_fma_f64 v[160:161], v[12:13], s[14:15], -v[156:157]
	v_fma_f64 v[156:157], v[12:13], s[14:15], v[156:157]
	v_add_f64 v[38:39], v[160:161], v[38:39]
	v_mul_f64 v[160:161], v[16:17], s[36:37]
	v_add_f64 v[22:23], v[156:157], v[22:23]
	v_fma_f64 v[156:157], v[14:15], s[14:15], -v[160:161]
	v_fma_f64 v[162:163], v[14:15], s[14:15], v[160:161]
	v_add_f64 v[72:73], v[156:157], v[72:73]
	v_mul_f64 v[156:157], v[18:19], s[22:23]
	v_add_f64 v[74:75], v[162:163], v[74:75]
	v_fma_f64 v[160:161], v[12:13], s[16:17], -v[156:157]
	v_fma_f64 v[156:157], v[12:13], s[16:17], v[156:157]
	v_add_f64 v[78:79], v[160:161], v[78:79]
	v_mul_f64 v[160:161], v[16:17], s[22:23]
	v_add_f64 v[76:77], v[156:157], v[76:77]
	v_fma_f64 v[156:157], v[14:15], s[16:17], -v[160:161]
	v_fma_f64 v[162:163], v[14:15], s[16:17], v[160:161]
	v_add_f64 v[80:81], v[156:157], v[80:81]
	v_mul_f64 v[156:157], v[18:19], s[38:39]
	v_add_f64 v[82:83], v[162:163], v[82:83]
	v_mul_f64 v[162:163], v[16:17], s[38:39]
	v_fma_f64 v[160:161], v[12:13], s[18:19], -v[156:157]
	v_fma_f64 v[156:157], v[12:13], s[18:19], v[156:157]
	v_fma_f64 v[164:165], v[14:15], s[18:19], v[162:163]
	v_add_f64 v[160:161], v[160:161], v[166:167]
	v_add_f64 v[94:95], v[156:157], v[94:95]
	v_fma_f64 v[156:157], v[14:15], s[18:19], -v[162:163]
	v_mul_f64 v[162:163], v[18:19], s[34:35]
	v_mul_f64 v[18:19], v[18:19], s[30:31]
	v_add_f64 v[164:165], v[164:165], v[170:171]
	v_add_f64 v[156:157], v[156:157], v[168:169]
	v_fma_f64 v[166:167], v[12:13], s[12:13], -v[162:163]
	v_fma_f64 v[162:163], v[12:13], s[12:13], v[162:163]
	v_mul_f64 v[168:169], v[16:17], s[34:35]
	v_mul_f64 v[16:17], v[16:17], s[30:31]
	v_add_f64 v[166:167], v[166:167], v[174:175]
	v_add_f64 v[162:163], v[162:163], v[172:173]
	v_fma_f64 v[172:173], v[12:13], s[6:7], -v[18:19]
	v_fma_f64 v[12:13], v[12:13], s[6:7], v[18:19]
	v_add_f64 v[18:19], v[148:149], -v[152:153]
	v_fma_f64 v[170:171], v[14:15], s[12:13], v[168:169]
	v_fma_f64 v[168:169], v[14:15], s[12:13], -v[168:169]
	v_fma_f64 v[174:175], v[14:15], s[6:7], v[16:17]
	v_add_f64 v[172:173], v[172:173], v[180:181]
	v_add_f64 v[8:9], v[12:13], v[8:9]
	v_fma_f64 v[12:13], v[14:15], s[6:7], -v[16:17]
	v_add_f64 v[14:15], v[148:149], v[152:153]
	v_mul_f64 v[148:149], v[18:19], s[20:21]
	v_add_f64 v[16:17], v[154:155], -v[158:159]
	v_add_f64 v[170:171], v[170:171], v[178:179]
	v_add_f64 v[168:169], v[168:169], v[176:177]
	;; [unrolled: 1-line block ×3, first 2 shown]
	v_mul_f64 v[176:177], v[200:201], s[36:37]
	v_mul_f64 v[180:181], v[200:201], s[22:23]
	v_add_f64 v[10:11], v[12:13], v[10:11]
	v_add_f64 v[12:13], v[154:155], v[158:159]
	v_fma_f64 v[152:153], v[12:13], s[12:13], -v[148:149]
	v_fma_f64 v[148:149], v[12:13], s[12:13], v[148:149]
	v_add_f64 v[38:39], v[152:153], v[38:39]
	v_mul_f64 v[152:153], v[16:17], s[20:21]
	v_add_f64 v[22:23], v[148:149], v[22:23]
	v_fma_f64 v[148:149], v[14:15], s[12:13], -v[152:153]
	v_fma_f64 v[154:155], v[14:15], s[12:13], v[152:153]
	v_add_f64 v[72:73], v[148:149], v[72:73]
	v_mul_f64 v[148:149], v[18:19], s[38:39]
	;; [unrolled: 5-line block ×4, first 2 shown]
	v_add_f64 v[82:83], v[154:155], v[82:83]
	v_mul_f64 v[154:155], v[16:17], s[28:29]
	v_fma_f64 v[152:153], v[12:13], s[14:15], -v[148:149]
	v_fma_f64 v[148:149], v[12:13], s[14:15], v[148:149]
	v_fma_f64 v[158:159], v[14:15], s[14:15], v[154:155]
	v_add_f64 v[152:153], v[152:153], v[160:161]
	v_add_f64 v[94:95], v[148:149], v[94:95]
	v_fma_f64 v[148:149], v[14:15], s[14:15], -v[154:155]
	v_mul_f64 v[154:155], v[18:19], s[24:25]
	v_mul_f64 v[18:19], v[18:19], s[22:23]
	;; [unrolled: 1-line block ×4, first 2 shown]
	v_add_f64 v[158:159], v[158:159], v[164:165]
	v_add_f64 v[148:149], v[148:149], v[156:157]
	v_fma_f64 v[156:157], v[12:13], s[6:7], -v[154:155]
	v_fma_f64 v[154:155], v[12:13], s[6:7], v[154:155]
	v_fma_f64 v[164:165], v[14:15], s[6:7], v[160:161]
	v_fma_f64 v[160:161], v[14:15], s[6:7], -v[160:161]
	v_add_f64 v[156:157], v[156:157], v[166:167]
	v_add_f64 v[154:155], v[154:155], v[162:163]
	v_fma_f64 v[162:163], v[12:13], s[16:17], -v[18:19]
	v_fma_f64 v[12:13], v[12:13], s[16:17], v[18:19]
	v_add_f64 v[18:19], v[142:143], -v[144:145]
	v_fma_f64 v[166:167], v[14:15], s[16:17], v[16:17]
	v_add_f64 v[164:165], v[164:165], v[170:171]
	v_add_f64 v[160:161], v[160:161], v[168:169]
	;; [unrolled: 1-line block ×4, first 2 shown]
	v_fma_f64 v[12:13], v[14:15], s[16:17], -v[16:17]
	v_add_f64 v[14:15], v[142:143], v[144:145]
	v_mul_f64 v[142:143], v[18:19], s[22:23]
	v_add_f64 v[16:17], v[146:147], -v[150:151]
	v_add_f64 v[168:169], v[166:167], v[174:175]
	v_add_f64 v[10:11], v[12:13], v[10:11]
	;; [unrolled: 1-line block ×3, first 2 shown]
	v_fma_f64 v[144:145], v[12:13], s[16:17], -v[142:143]
	v_fma_f64 v[142:143], v[12:13], s[16:17], v[142:143]
	v_add_f64 v[170:171], v[144:145], v[38:39]
	v_mul_f64 v[38:39], v[16:17], s[22:23]
	v_add_f64 v[172:173], v[142:143], v[22:23]
	v_fma_f64 v[22:23], v[14:15], s[16:17], -v[38:39]
	v_fma_f64 v[144:145], v[14:15], s[16:17], v[38:39]
	v_add_f64 v[72:73], v[22:23], v[72:73]
	v_mul_f64 v[22:23], v[18:19], s[34:35]
	v_add_f64 v[74:75], v[144:145], v[74:75]
	;; [unrolled: 5-line block ×5, first 2 shown]
	v_fma_f64 v[22:23], v[14:15], s[6:7], -v[38:39]
	v_fma_f64 v[142:143], v[14:15], s[6:7], v[38:39]
	v_add_f64 v[146:147], v[22:23], v[148:149]
	v_mul_f64 v[22:23], v[18:19], s[26:27]
	v_mul_f64 v[18:19], v[18:19], s[28:29]
	v_add_f64 v[142:143], v[142:143], v[158:159]
	v_fma_f64 v[38:39], v[12:13], s[18:19], -v[22:23]
	v_fma_f64 v[22:23], v[12:13], s[18:19], v[22:23]
	v_add_f64 v[148:149], v[38:39], v[156:157]
	v_mul_f64 v[38:39], v[16:17], s[26:27]
	v_add_f64 v[152:153], v[22:23], v[154:155]
	v_mul_f64 v[16:17], v[16:17], s[28:29]
	v_fma_f64 v[94:95], v[14:15], s[18:19], v[38:39]
	v_fma_f64 v[22:23], v[14:15], s[18:19], -v[38:39]
	v_add_f64 v[150:151], v[94:95], v[164:165]
	v_add_f64 v[154:155], v[22:23], v[160:161]
	v_fma_f64 v[22:23], v[12:13], s[14:15], -v[18:19]
	v_fma_f64 v[12:13], v[12:13], s[14:15], v[18:19]
	v_add_f64 v[164:165], v[138:139], -v[140:141]
	v_add_f64 v[160:161], v[138:139], v[140:141]
	v_add_f64 v[156:157], v[22:23], v[162:163]
	v_fma_f64 v[22:23], v[14:15], s[14:15], v[16:17]
	v_add_f64 v[38:39], v[12:13], v[8:9]
	v_fma_f64 v[8:9], v[14:15], s[14:15], -v[16:17]
	v_add_f64 v[162:163], v[89:90], v[136:137]
	v_mul_f64 v[14:15], v[164:165], s[26:27]
	v_add_f64 v[89:90], v[89:90], -v[136:137]
	v_add_f64 v[158:159], v[22:23], v[168:169]
	v_add_f64 v[22:23], v[8:9], v[10:11]
	v_fma_f64 v[10:11], v[162:163], s[18:19], v[14:15]
	v_fma_f64 v[14:15], v[162:163], s[18:19], -v[14:15]
	v_mul_f64 v[12:13], v[89:90], s[26:27]
	v_add_f64 v[10:11], v[10:11], v[74:75]
	v_add_f64 v[14:15], v[14:15], v[72:73]
	v_mul_f64 v[72:73], v[89:90], s[30:31]
	v_mul_f64 v[74:75], v[164:165], s[30:31]
	v_fma_f64 v[8:9], v[160:161], s[18:19], -v[12:13]
	v_fma_f64 v[12:13], v[160:161], s[18:19], v[12:13]
	v_fma_f64 v[16:17], v[160:161], s[6:7], -v[72:73]
	v_fma_f64 v[72:73], v[160:161], s[6:7], v[72:73]
	v_fma_f64 v[18:19], v[162:163], s[6:7], v[74:75]
	v_add_f64 v[8:9], v[8:9], v[170:171]
	v_add_f64 v[12:13], v[12:13], v[172:173]
	;; [unrolled: 1-line block ×4, first 2 shown]
	v_fma_f64 v[72:73], v[162:163], s[6:7], -v[74:75]
	v_add_f64 v[18:19], v[18:19], v[82:83]
	v_add_f64 v[138:139], v[72:73], v[80:81]
	v_mul_f64 v[72:73], v[89:90], s[22:23]
	v_fma_f64 v[74:75], v[160:161], s[16:17], -v[72:73]
	v_fma_f64 v[72:73], v[160:161], s[16:17], v[72:73]
	v_add_f64 v[140:141], v[74:75], v[166:167]
	v_mul_f64 v[74:75], v[164:165], s[22:23]
	v_add_f64 v[144:145], v[72:73], v[144:145]
	v_fma_f64 v[72:73], v[162:163], s[16:17], -v[74:75]
	v_fma_f64 v[76:77], v[162:163], s[16:17], v[74:75]
	v_add_f64 v[146:147], v[72:73], v[146:147]
	v_mul_f64 v[72:73], v[89:90], s[28:29]
	v_add_f64 v[142:143], v[76:77], v[142:143]
	;; [unrolled: 5-line block ×5, first 2 shown]
	v_add_f64 v[72:73], v[56:57], -v[32:33]
	v_fma_f64 v[76:77], v[162:163], s[12:13], v[74:75]
	v_fma_f64 v[38:39], v[162:163], s[12:13], -v[74:75]
	v_add_f64 v[74:75], v[58:59], -v[20:21]
	v_mul_f64 v[164:165], v[72:73], s[24:25]
	v_mul_f64 v[168:169], v[72:73], s[36:37]
	v_add_f64 v[158:159], v[76:77], v[158:159]
	v_add_f64 v[162:163], v[38:39], v[22:23]
	;; [unrolled: 1-line block ×3, first 2 shown]
	v_mul_f64 v[94:95], v[74:75], s[20:21]
	v_add_f64 v[38:39], v[58:59], v[20:21]
	v_mul_f64 v[89:90], v[74:75], s[24:25]
	v_mul_f64 v[166:167], v[74:75], s[36:37]
	v_fma_f64 v[170:171], v[22:23], s[12:13], -v[94:95]
	v_fma_f64 v[78:79], v[38:39], s[6:7], -v[164:165]
	v_fma_f64 v[76:77], v[22:23], s[6:7], v[89:90]
	v_fma_f64 v[80:81], v[22:23], s[14:15], v[166:167]
	v_fma_f64 v[82:83], v[38:39], s[14:15], -v[168:169]
	v_fma_f64 v[94:95], v[22:23], s[12:13], v[94:95]
	v_add_f64 v[182:183], v[0:1], v[170:171]
	v_mul_f64 v[170:171], v[72:73], s[20:21]
	v_add_f64 v[76:77], v[0:1], v[76:77]
	v_add_f64 v[78:79], v[2:3], v[78:79]
	;; [unrolled: 1-line block ×5, first 2 shown]
	v_fma_f64 v[172:173], v[38:39], s[12:13], v[170:171]
	v_fma_f64 v[170:171], v[38:39], s[12:13], -v[170:171]
	v_add_f64 v[184:185], v[2:3], v[172:173]
	v_add_f64 v[186:187], v[2:3], v[170:171]
	v_mul_f64 v[170:171], v[74:75], s[22:23]
	v_mul_f64 v[74:75], v[74:75], s[26:27]
	v_fma_f64 v[172:173], v[22:23], s[16:17], -v[170:171]
	v_fma_f64 v[170:171], v[22:23], s[16:17], v[170:171]
	v_add_f64 v[188:189], v[0:1], v[172:173]
	v_mul_f64 v[172:173], v[72:73], s[22:23]
	v_add_f64 v[192:193], v[0:1], v[170:171]
	v_mul_f64 v[72:73], v[72:73], s[26:27]
	v_fma_f64 v[170:171], v[38:39], s[16:17], -v[172:173]
	v_fma_f64 v[174:175], v[38:39], s[16:17], v[172:173]
	v_add_f64 v[172:173], v[62:63], v[36:37]
	v_add_f64 v[194:195], v[2:3], v[170:171]
	v_fma_f64 v[170:171], v[22:23], s[18:19], -v[74:75]
	v_add_f64 v[190:191], v[2:3], v[174:175]
	v_mul_f64 v[174:175], v[202:203], s[36:37]
	v_fma_f64 v[74:75], v[22:23], s[18:19], v[74:75]
	v_add_f64 v[196:197], v[0:1], v[170:171]
	v_fma_f64 v[170:171], v[38:39], s[18:19], v[72:73]
	v_fma_f64 v[72:73], v[38:39], s[18:19], -v[72:73]
	v_add_f64 v[74:75], v[0:1], v[74:75]
	v_add_f64 v[198:199], v[2:3], v[170:171]
	;; [unrolled: 1-line block ×4, first 2 shown]
	v_fma_f64 v[178:179], v[170:171], s[14:15], v[174:175]
	v_add_f64 v[76:77], v[178:179], v[76:77]
	v_fma_f64 v[178:179], v[172:173], s[14:15], -v[176:177]
	v_add_f64 v[78:79], v[178:179], v[78:79]
	v_mul_f64 v[178:179], v[202:203], s[22:23]
	v_fma_f64 v[204:205], v[170:171], s[16:17], v[178:179]
	v_add_f64 v[80:81], v[204:205], v[80:81]
	v_fma_f64 v[204:205], v[172:173], s[16:17], -v[180:181]
	v_add_f64 v[82:83], v[204:205], v[82:83]
	v_mul_f64 v[204:205], v[202:203], s[38:39]
	v_fma_f64 v[206:207], v[170:171], s[18:19], -v[204:205]
	v_fma_f64 v[204:205], v[170:171], s[18:19], v[204:205]
	v_add_f64 v[206:207], v[206:207], v[182:183]
	v_mul_f64 v[182:183], v[200:201], s[38:39]
	v_add_f64 v[94:95], v[204:205], v[94:95]
	v_fma_f64 v[208:209], v[172:173], s[18:19], v[182:183]
	v_fma_f64 v[182:183], v[172:173], s[18:19], -v[182:183]
	v_add_f64 v[184:185], v[208:209], v[184:185]
	v_add_f64 v[186:187], v[182:183], v[186:187]
	v_mul_f64 v[182:183], v[202:203], s[34:35]
	v_fma_f64 v[204:205], v[170:171], s[12:13], -v[182:183]
	v_fma_f64 v[182:183], v[170:171], s[12:13], v[182:183]
	v_add_f64 v[188:189], v[204:205], v[188:189]
	v_mul_f64 v[204:205], v[200:201], s[34:35]
	v_add_f64 v[192:193], v[182:183], v[192:193]
	v_mul_f64 v[200:201], v[200:201], s[30:31]
	v_fma_f64 v[182:183], v[172:173], s[12:13], -v[204:205]
	v_fma_f64 v[208:209], v[172:173], s[12:13], v[204:205]
	v_add_f64 v[194:195], v[182:183], v[194:195]
	v_mul_f64 v[182:183], v[202:203], s[30:31]
	v_add_f64 v[190:191], v[208:209], v[190:191]
	v_fma_f64 v[202:203], v[170:171], s[6:7], -v[182:183]
	v_fma_f64 v[182:183], v[170:171], s[6:7], v[182:183]
	v_add_f64 v[196:197], v[202:203], v[196:197]
	v_fma_f64 v[202:203], v[172:173], s[6:7], v[200:201]
	v_add_f64 v[74:75], v[182:183], v[74:75]
	v_fma_f64 v[182:183], v[172:173], s[6:7], -v[200:201]
	v_add_f64 v[200:201], v[84:85], -v[86:87]
	v_add_f64 v[198:199], v[202:203], v[198:199]
	v_add_f64 v[202:203], v[42:43], -v[26:27]
	v_add_f64 v[72:73], v[182:183], v[72:73]
	v_add_f64 v[182:183], v[84:85], v[86:87]
	v_mul_f64 v[220:221], v[200:201], s[20:21]
	v_mul_f64 v[224:225], v[200:201], s[38:39]
	;; [unrolled: 1-line block ×4, first 2 shown]
	v_fma_f64 v[204:205], v[182:183], s[12:13], v[218:219]
	v_add_f64 v[76:77], v[204:205], v[76:77]
	v_fma_f64 v[204:205], v[216:217], s[12:13], -v[220:221]
	v_add_f64 v[78:79], v[204:205], v[78:79]
	v_fma_f64 v[204:205], v[182:183], s[18:19], v[222:223]
	v_add_f64 v[80:81], v[204:205], v[80:81]
	v_fma_f64 v[204:205], v[216:217], s[18:19], -v[224:225]
	v_add_f64 v[82:83], v[204:205], v[82:83]
	v_mul_f64 v[204:205], v[202:203], s[28:29]
	v_fma_f64 v[208:209], v[182:183], s[14:15], -v[204:205]
	v_fma_f64 v[204:205], v[182:183], s[14:15], v[204:205]
	v_add_f64 v[206:207], v[208:209], v[206:207]
	v_mul_f64 v[208:209], v[200:201], s[28:29]
	v_add_f64 v[94:95], v[204:205], v[94:95]
	v_fma_f64 v[204:205], v[216:217], s[14:15], -v[208:209]
	v_fma_f64 v[210:211], v[216:217], s[14:15], v[208:209]
	v_add_f64 v[186:187], v[204:205], v[186:187]
	v_mul_f64 v[204:205], v[202:203], s[24:25]
	v_mul_f64 v[202:203], v[202:203], s[22:23]
	v_add_f64 v[184:185], v[210:211], v[184:185]
	v_fma_f64 v[208:209], v[182:183], s[6:7], -v[204:205]
	v_fma_f64 v[204:205], v[182:183], s[6:7], v[204:205]
	v_add_f64 v[188:189], v[208:209], v[188:189]
	v_mul_f64 v[208:209], v[200:201], s[24:25]
	v_add_f64 v[192:193], v[204:205], v[192:193]
	v_mul_f64 v[200:201], v[200:201], s[22:23]
	v_fma_f64 v[204:205], v[216:217], s[6:7], -v[208:209]
	v_fma_f64 v[210:211], v[216:217], s[6:7], v[208:209]
	v_add_f64 v[194:195], v[204:205], v[194:195]
	v_fma_f64 v[204:205], v[182:183], s[16:17], -v[202:203]
	v_fma_f64 v[202:203], v[182:183], s[16:17], v[202:203]
	v_add_f64 v[190:191], v[210:211], v[190:191]
	v_add_f64 v[196:197], v[204:205], v[196:197]
	v_fma_f64 v[204:205], v[216:217], s[16:17], v[200:201]
	v_add_f64 v[74:75], v[202:203], v[74:75]
	v_fma_f64 v[200:201], v[216:217], s[16:17], -v[200:201]
	v_add_f64 v[202:203], v[44:45], -v[30:31]
	v_add_f64 v[198:199], v[204:205], v[198:199]
	v_add_f64 v[72:73], v[200:201], v[72:73]
	v_add_f64 v[200:201], v[65:66], -v[28:29]
	v_mul_f64 v[230:231], v[202:203], s[22:23]
	v_mul_f64 v[234:235], v[202:203], s[34:35]
	v_mul_f64 v[232:233], v[200:201], s[22:23]
	v_fma_f64 v[204:205], v[226:227], s[16:17], v[230:231]
	v_mul_f64 v[236:237], v[200:201], s[34:35]
	v_add_f64 v[76:77], v[204:205], v[76:77]
	v_fma_f64 v[204:205], v[228:229], s[16:17], -v[232:233]
	v_add_f64 v[78:79], v[204:205], v[78:79]
	v_fma_f64 v[204:205], v[226:227], s[12:13], v[234:235]
	v_add_f64 v[80:81], v[204:205], v[80:81]
	v_fma_f64 v[204:205], v[228:229], s[12:13], -v[236:237]
	v_add_f64 v[82:83], v[204:205], v[82:83]
	v_mul_f64 v[204:205], v[202:203], s[24:25]
	v_fma_f64 v[208:209], v[226:227], s[6:7], -v[204:205]
	v_add_f64 v[252:253], v[208:209], v[206:207]
	v_mul_f64 v[206:207], v[200:201], s[24:25]
	v_fma_f64 v[208:209], v[228:229], s[6:7], v[206:207]
	v_add_f64 v[254:255], v[208:209], v[184:185]
	v_fma_f64 v[184:185], v[226:227], s[6:7], v[204:205]
	v_add_f64 v[94:95], v[184:185], v[94:95]
	v_fma_f64 v[184:185], v[228:229], s[6:7], -v[206:207]
	v_add_f64 v[24:25], v[184:185], v[186:187]
	v_mul_f64 v[184:185], v[202:203], s[26:27]
	v_fma_f64 v[186:187], v[226:227], s[18:19], -v[184:185]
	v_fma_f64 v[184:185], v[226:227], s[18:19], v[184:185]
	v_add_f64 v[48:49], v[186:187], v[188:189]
	v_mul_f64 v[186:187], v[200:201], s[26:27]
	v_add_f64 v[204:205], v[184:185], v[192:193]
	v_fma_f64 v[184:185], v[228:229], s[18:19], -v[186:187]
	v_fma_f64 v[188:189], v[228:229], s[18:19], v[186:187]
	v_add_f64 v[206:207], v[184:185], v[194:195]
	v_mul_f64 v[184:185], v[202:203], s[28:29]
	v_add_f64 v[40:41], v[188:189], v[190:191]
	;; [unrolled: 5-line block ×3, first 2 shown]
	v_fma_f64 v[74:75], v[228:229], s[14:15], -v[186:187]
	v_fma_f64 v[188:189], v[228:229], s[14:15], v[186:187]
	v_add_f64 v[214:215], v[74:75], v[72:73]
	v_add_f64 v[72:73], v[54:55], -v[50:51]
	v_add_f64 v[210:211], v[188:189], v[198:199]
	v_mul_f64 v[242:243], v[72:73], s[26:27]
	v_mul_f64 v[246:247], v[72:73], s[30:31]
	v_fma_f64 v[74:75], v[238:239], s[18:19], v[242:243]
	v_add_f64 v[188:189], v[74:75], v[76:77]
	v_fma_f64 v[74:75], v[240:241], s[18:19], -v[244:245]
	v_add_f64 v[190:191], v[74:75], v[78:79]
	v_fma_f64 v[74:75], v[238:239], s[6:7], v[246:247]
	v_add_f64 v[192:193], v[74:75], v[80:81]
	v_fma_f64 v[74:75], v[240:241], s[6:7], -v[248:249]
	v_add_f64 v[194:195], v[74:75], v[82:83]
	v_mul_f64 v[74:75], v[72:73], s[22:23]
	v_fma_f64 v[76:77], v[238:239], s[16:17], -v[74:75]
	v_fma_f64 v[74:75], v[238:239], s[16:17], v[74:75]
	v_add_f64 v[184:185], v[76:77], v[252:253]
	v_mul_f64 v[76:77], v[250:251], s[22:23]
	v_add_f64 v[196:197], v[74:75], v[94:95]
	v_fma_f64 v[74:75], v[240:241], s[16:17], -v[76:77]
	v_fma_f64 v[78:79], v[240:241], s[16:17], v[76:77]
	v_add_f64 v[198:199], v[74:75], v[24:25]
	v_mul_f64 v[24:25], v[72:73], s[28:29]
	v_add_f64 v[186:187], v[78:79], v[254:255]
	;; [unrolled: 5-line block ×5, first 2 shown]
	v_fma_f64 v[24:25], v[240:241], s[12:13], -v[40:41]
	v_fma_f64 v[48:49], v[240:241], s[12:13], v[40:41]
	v_add_f64 v[214:215], v[24:25], v[214:215]
	buffer_load_dword v25, off, s[40:43], 0 offset:260 ; 4-byte Folded Reload
	v_lshrrev_b32_e32 v24, 1, v93
	v_add_f64 v[210:211], v[48:49], v[210:211]
	v_mul_u32_u24_e32 v24, 22, v24
	s_waitcnt vmcnt(0)
	v_or_b32_e32 v24, v24, v25
	v_lshl_add_u32 v94, v24, 4, v64
	ds_write_b128 v94, v[4:7]
	ds_write_b128 v94, v[8:11] offset:32
	ds_write_b128 v94, v[16:19] offset:64
	;; [unrolled: 1-line block ×10, first 2 shown]
	v_lshrrev_b32_e32 v4, 1, v92
	buffer_store_dword v4, off, s[40:43], 0 offset:412 ; 4-byte Folded Spill
	s_and_saveexec_b32 s20, vcc_lo
	s_cbranch_execz .LBB0_5
; %bb.4:
	v_add_f64 v[4:5], v[2:3], v[58:59]
	v_add_f64 v[6:7], v[0:1], v[56:57]
	v_mul_f64 v[8:9], v[38:39], s[14:15]
	v_mul_f64 v[10:11], v[22:23], s[14:15]
	;; [unrolled: 1-line block ×11, first 2 shown]
	v_add_f64 v[4:5], v[4:5], v[62:63]
	v_add_f64 v[6:7], v[6:7], v[60:61]
	;; [unrolled: 1-line block ×3, first 2 shown]
	v_add_f64 v[10:11], v[10:11], -v[166:167]
	v_add_f64 v[12:13], v[164:165], v[12:13]
	v_add_f64 v[14:15], v[14:15], -v[89:90]
	v_add_f64 v[22:23], v[176:177], v[22:23]
	v_add_f64 v[24:25], v[24:25], -v[174:175]
	v_add_f64 v[16:17], v[180:181], v[16:17]
	v_add_f64 v[18:19], v[18:19], -v[178:179]
	v_add_f64 v[38:39], v[38:39], -v[218:219]
	v_add_f64 v[40:41], v[220:221], v[40:41]
	v_add_f64 v[4:5], v[4:5], v[42:43]
	;; [unrolled: 1-line block ×7, first 2 shown]
	v_mul_f64 v[42:43], v[216:217], s[18:19]
	v_mul_f64 v[12:13], v[226:227], s[16:17]
	v_mul_f64 v[14:15], v[228:229], s[16:17]
	v_add_f64 v[4:5], v[4:5], v[44:45]
	v_add_f64 v[6:7], v[6:7], v[65:66]
	v_mul_f64 v[44:45], v[182:183], s[18:19]
	v_add_f64 v[8:9], v[16:17], v[8:9]
	v_add_f64 v[2:3], v[22:23], v[2:3]
	;; [unrolled: 1-line block ×5, first 2 shown]
	v_mul_f64 v[16:17], v[238:239], s[18:19]
	v_mul_f64 v[18:19], v[240:241], s[18:19]
	v_add_f64 v[14:15], v[232:233], v[14:15]
	v_add_f64 v[12:13], v[12:13], -v[230:231]
	v_mul_f64 v[22:23], v[238:239], s[6:7]
	v_mul_f64 v[24:25], v[240:241], s[6:7]
	v_add_f64 v[4:5], v[4:5], v[54:55]
	v_add_f64 v[6:7], v[6:7], v[52:53]
	v_add_f64 v[44:45], v[44:45], -v[222:223]
	v_add_f64 v[2:3], v[40:41], v[2:3]
	v_add_f64 v[0:1], v[38:39], v[0:1]
	;; [unrolled: 1-line block ×3, first 2 shown]
	v_add_f64 v[16:17], v[16:17], -v[242:243]
	v_add_f64 v[18:19], v[244:245], v[18:19]
	v_add_f64 v[22:23], v[22:23], -v[246:247]
	v_add_f64 v[24:25], v[248:249], v[24:25]
	v_add_f64 v[4:5], v[4:5], v[50:51]
	;; [unrolled: 1-line block ×3, first 2 shown]
	v_mul_f64 v[46:47], v[226:227], s[12:13]
	v_add_f64 v[10:11], v[44:45], v[10:11]
	v_add_f64 v[14:15], v[14:15], v[2:3]
	;; [unrolled: 1-line block ×3, first 2 shown]
	v_lshrrev_b32_e32 v0, 1, v92
	v_add_f64 v[4:5], v[4:5], v[30:31]
	v_add_f64 v[6:7], v[6:7], v[28:29]
	;; [unrolled: 1-line block ×3, first 2 shown]
	v_add_f64 v[30:31], v[46:47], -v[234:235]
	v_add_f64 v[4:5], v[4:5], v[26:27]
	v_add_f64 v[6:7], v[6:7], v[86:87]
	;; [unrolled: 1-line block ×4, first 2 shown]
	v_mul_u32_u24_e32 v30, 22, v0
	v_add_f64 v[26:27], v[4:5], v[36:37]
	v_add_f64 v[28:29], v[6:7], v[34:35]
	;; [unrolled: 1-line block ×4, first 2 shown]
	v_and_b32_e32 v12, 1, v92
	v_add_f64 v[2:3], v[24:25], v[8:9]
	v_add_f64 v[0:1], v[22:23], v[10:11]
	v_or_b32_e32 v12, v30, v12
	v_lshl_add_u32 v12, v12, 4, v64
	v_add_f64 v[10:11], v[26:27], v[20:21]
	v_add_f64 v[8:9], v[28:29], v[32:33]
	ds_write_b128 v12, v[184:187] offset:96
	ds_write_b128 v12, v[200:203] offset:128
	;; [unrolled: 1-line block ×9, first 2 shown]
	ds_write_b128 v12, v[8:11]
	ds_write_b128 v12, v[188:191] offset:320
.LBB0_5:
	s_or_b32 exec_lo, exec_lo, s20
	buffer_load_dword v95, off, s[40:43], 0 ; 4-byte Folded Reload
	s_waitcnt vmcnt(0) lgkmcnt(0)
	s_waitcnt_vscnt null, 0x0
	s_barrier
	buffer_gl0_inv
	s_mov_b32 s14, 0x37e14327
	s_mov_b32 s12, 0x36b3c0b5
	;; [unrolled: 1-line block ×20, first 2 shown]
	v_lshrrev_b16 v44, 1, v95
	v_lshlrev_b32_e32 v0, 4, v95
	v_and_b32_e32 v44, 0x7f, v44
	v_add_co_u32 v60, s0, s0, v0
	ds_read_b128 v[4:7], v91
	ds_read_b128 v[16:19], v91 offset:2464
	ds_read_b128 v[20:23], v91 offset:4928
	;; [unrolled: 1-line block ×13, first 2 shown]
	v_add_co_ci_u32_e64 v61, null, s1, 0, s0
	v_mul_lo_u16 v44, 0xbb, v44
	v_lshrrev_b16 v48, 11, v44
	v_mul_lo_u16 v44, v48, 22
	v_sub_nc_u16 v44, v95, v44
	v_and_b32_e32 v49, 0xff, v44
	v_mad_u64_u32 v[44:45], null, 0x60, v49, s[2:3]
	s_clause 0x5
	global_load_dwordx4 v[136:139], v[44:45], off offset:368
	global_load_dwordx4 v[140:143], v[44:45], off offset:352
	;; [unrolled: 1-line block ×6, first 2 shown]
	s_waitcnt vmcnt(2) lgkmcnt(12)
	v_mul_f64 v[46:47], v[18:19], v[150:151]
	v_fma_f64 v[62:63], v[16:17], v[148:149], -v[46:47]
	v_mul_f64 v[16:17], v[16:17], v[150:151]
	v_fma_f64 v[16:17], v[18:19], v[148:149], v[16:17]
	s_waitcnt lgkmcnt(11)
	v_mul_f64 v[18:19], v[22:23], v[146:147]
	v_fma_f64 v[18:19], v[20:21], v[144:145], -v[18:19]
	v_mul_f64 v[20:21], v[20:21], v[146:147]
	v_fma_f64 v[20:21], v[22:23], v[144:145], v[20:21]
	s_waitcnt lgkmcnt(10)
	;; [unrolled: 5-line block ×3, first 2 shown]
	v_mul_f64 v[26:27], v[30:31], v[138:139]
	v_fma_f64 v[26:27], v[28:29], v[136:137], -v[26:27]
	v_mul_f64 v[28:29], v[28:29], v[138:139]
	v_fma_f64 v[28:29], v[30:31], v[136:137], v[28:29]
	s_waitcnt vmcnt(0) lgkmcnt(8)
	v_mul_f64 v[30:31], v[34:35], v[158:159]
	v_fma_f64 v[30:31], v[32:33], v[156:157], -v[30:31]
	v_mul_f64 v[32:33], v[32:33], v[158:159]
	v_fma_f64 v[72:73], v[34:35], v[156:157], v[32:33]
	s_waitcnt lgkmcnt(7)
	v_mul_f64 v[32:33], v[38:39], v[154:155]
	v_fma_f64 v[74:75], v[36:37], v[152:153], -v[32:33]
	v_mul_f64 v[32:33], v[36:37], v[154:155]
	v_fma_f64 v[76:77], v[38:39], v[152:153], v[32:33]
	v_lshrrev_b16 v32, 1, v92
	v_and_b32_e32 v32, 0x7f, v32
	v_mul_lo_u16 v32, 0xbb, v32
	v_lshrrev_b16 v50, 11, v32
	v_mul_lo_u16 v32, v50, 22
	v_sub_nc_u16 v32, v92, v32
	v_and_b32_e32 v51, 0xff, v32
	v_mad_u64_u32 v[78:79], null, 0x60, v51, s[2:3]
	s_clause 0x3
	global_load_dwordx4 v[160:163], v[78:79], off offset:368
	global_load_dwordx4 v[164:167], v[78:79], off offset:352
	;; [unrolled: 1-line block ×4, first 2 shown]
	s_waitcnt vmcnt(3) lgkmcnt(2)
	v_mul_f64 v[36:37], v[178:179], v[162:163]
	v_mul_f64 v[38:39], v[176:177], v[162:163]
	s_waitcnt vmcnt(2)
	v_mul_f64 v[34:35], v[56:57], v[166:167]
	s_waitcnt vmcnt(0)
	v_mul_f64 v[32:33], v[42:43], v[174:175]
	v_fma_f64 v[36:37], v[176:177], v[160:161], -v[36:37]
	v_fma_f64 v[38:39], v[178:179], v[160:161], v[38:39]
	s_clause 0x1
	global_load_dwordx4 v[176:179], v[78:79], off offset:400
	global_load_dwordx4 v[180:183], v[78:79], off offset:384
	v_fma_f64 v[44:45], v[40:41], v[172:173], -v[32:33]
	v_mul_f64 v[32:33], v[40:41], v[174:175]
	v_fma_f64 v[34:35], v[58:59], v[164:165], v[34:35]
	s_waitcnt vmcnt(0) lgkmcnt(0)
	s_barrier
	buffer_gl0_inv
	v_fma_f64 v[46:47], v[42:43], v[172:173], v[32:33]
	v_mul_f64 v[32:33], v[54:55], v[170:171]
	v_fma_f64 v[40:41], v[52:53], v[168:169], -v[32:33]
	v_mul_f64 v[32:33], v[52:53], v[170:171]
	v_fma_f64 v[42:43], v[54:55], v[168:169], v[32:33]
	v_mul_f64 v[32:33], v[58:59], v[166:167]
	v_fma_f64 v[32:33], v[56:57], v[164:165], -v[32:33]
	v_mul_f64 v[52:53], v[14:15], v[182:183]
	v_fma_f64 v[52:53], v[12:13], v[180:181], -v[52:53]
	v_mul_f64 v[12:13], v[12:13], v[182:183]
	v_fma_f64 v[54:55], v[14:15], v[180:181], v[12:13]
	v_mul_f64 v[12:13], v[10:11], v[178:179]
	v_add_f64 v[14:15], v[16:17], -v[76:77]
	v_fma_f64 v[56:57], v[8:9], v[176:177], -v[12:13]
	v_mul_f64 v[8:9], v[8:9], v[178:179]
	v_add_f64 v[12:13], v[62:63], -v[74:75]
	v_fma_f64 v[58:59], v[10:11], v[176:177], v[8:9]
	v_add_f64 v[8:9], v[62:63], v[74:75]
	v_add_f64 v[10:11], v[16:17], v[76:77]
	;; [unrolled: 1-line block ×4, first 2 shown]
	v_add_f64 v[18:19], v[18:19], -v[30:31]
	v_add_f64 v[20:21], v[20:21], -v[72:73]
	v_add_f64 v[30:31], v[22:23], v[26:27]
	v_add_f64 v[72:73], v[24:25], v[28:29]
	v_add_f64 v[22:23], v[26:27], -v[22:23]
	v_add_f64 v[24:25], v[28:29], -v[24:25]
	v_add_f64 v[26:27], v[16:17], v[8:9]
	v_add_f64 v[28:29], v[62:63], v[10:11]
	v_add_f64 v[74:75], v[16:17], -v[8:9]
	v_add_f64 v[76:77], v[62:63], -v[10:11]
	;; [unrolled: 1-line block ×5, first 2 shown]
	v_add_f64 v[78:79], v[22:23], v[18:19]
	v_add_f64 v[80:81], v[24:25], v[20:21]
	v_add_f64 v[82:83], v[22:23], -v[18:19]
	v_add_f64 v[89:90], v[24:25], -v[20:21]
	;; [unrolled: 1-line block ×7, first 2 shown]
	v_add_f64 v[26:27], v[30:31], v[26:27]
	v_add_f64 v[28:29], v[72:73], v[28:29]
	v_mul_f64 v[8:9], v[8:9], s[14:15]
	v_mul_f64 v[10:11], v[10:11], s[14:15]
	;; [unrolled: 1-line block ×3, first 2 shown]
	v_add_f64 v[12:13], v[78:79], v[12:13]
	v_add_f64 v[14:15], v[80:81], v[14:15]
	v_mul_f64 v[78:79], v[82:83], s[16:17]
	v_mul_f64 v[80:81], v[89:90], s[16:17]
	;; [unrolled: 1-line block ×5, first 2 shown]
	v_add_f64 v[4:5], v[4:5], v[26:27]
	v_add_f64 v[6:7], v[6:7], v[28:29]
	v_fma_f64 v[16:17], v[16:17], s[12:13], v[8:9]
	v_fma_f64 v[62:63], v[62:63], s[12:13], v[10:11]
	v_fma_f64 v[30:31], v[74:75], s[20:21], -v[30:31]
	v_fma_f64 v[8:9], v[74:75], s[22:23], -v[8:9]
	;; [unrolled: 1-line block ×3, first 2 shown]
	v_fma_f64 v[74:75], v[22:23], s[26:27], v[78:79]
	v_fma_f64 v[20:21], v[20:21], s[6:7], -v[80:81]
	v_fma_f64 v[72:73], v[76:77], s[20:21], -v[72:73]
	;; [unrolled: 1-line block ×3, first 2 shown]
	v_fma_f64 v[76:77], v[24:25], s[26:27], v[80:81]
	v_fma_f64 v[22:23], v[22:23], s[28:29], -v[82:83]
	v_fma_f64 v[24:25], v[24:25], s[28:29], -v[89:90]
	v_fma_f64 v[26:27], v[26:27], s[18:19], v[4:5]
	v_fma_f64 v[28:29], v[28:29], s[18:19], v[6:7]
	;; [unrolled: 1-line block ×8, first 2 shown]
	v_add_f64 v[30:31], v[30:31], v[26:27]
	v_add_f64 v[62:63], v[62:63], v[28:29]
	;; [unrolled: 1-line block ×6, first 2 shown]
	v_add_f64 v[16:17], v[30:31], -v[20:21]
	v_add_f64 v[10:11], v[62:63], -v[74:75]
	v_add_f64 v[20:21], v[20:21], v[30:31]
	v_add_f64 v[30:31], v[74:75], v[62:63]
	;; [unrolled: 1-line block ×3, first 2 shown]
	v_add_f64 v[44:45], v[44:45], -v[56:57]
	v_add_f64 v[56:57], v[40:41], v[52:53]
	v_add_f64 v[18:19], v[80:81], v[72:73]
	v_add_f64 v[22:23], v[72:73], -v[80:81]
	v_add_f64 v[72:73], v[46:47], v[58:59]
	v_add_f64 v[46:47], v[46:47], -v[58:59]
	;; [unrolled: 2-line block ×3, first 2 shown]
	v_add_f64 v[42:43], v[42:43], -v[54:55]
	v_add_f64 v[52:53], v[32:33], v[36:37]
	v_add_f64 v[54:55], v[34:35], v[38:39]
	v_add_f64 v[32:33], v[36:37], -v[32:33]
	v_add_f64 v[34:35], v[38:39], -v[34:35]
	v_add_f64 v[8:9], v[76:77], v[78:79]
	v_add_f64 v[12:13], v[24:25], v[26:27]
	v_add_f64 v[14:15], v[28:29], -v[82:83]
	v_add_f64 v[24:25], v[26:27], -v[24:25]
	v_add_f64 v[26:27], v[82:83], v[28:29]
	v_add_f64 v[28:29], v[78:79], -v[76:77]
	v_add_f64 v[36:37], v[56:57], v[62:63]
	;; [unrolled: 2-line block ×3, first 2 shown]
	v_add_f64 v[76:77], v[58:59], -v[72:73]
	v_add_f64 v[62:63], v[62:63], -v[52:53]
	;; [unrolled: 1-line block ×4, first 2 shown]
	v_add_f64 v[80:81], v[34:35], v[42:43]
	v_add_f64 v[89:90], v[34:35], -v[42:43]
	v_add_f64 v[58:59], v[54:55], -v[58:59]
	v_add_f64 v[78:79], v[32:33], v[40:41]
	v_add_f64 v[82:83], v[32:33], -v[40:41]
	v_add_f64 v[40:41], v[40:41], -v[44:45]
	;; [unrolled: 1-line block ×5, first 2 shown]
	v_add_f64 v[36:37], v[52:53], v[36:37]
	v_add_f64 v[38:39], v[54:55], v[38:39]
	v_mul_f64 v[52:53], v[62:63], s[14:15]
	v_mul_f64 v[62:63], v[56:57], s[12:13]
	;; [unrolled: 1-line block ×3, first 2 shown]
	v_add_f64 v[46:47], v[80:81], v[46:47]
	v_mul_f64 v[80:81], v[89:90], s[16:17]
	v_mul_f64 v[72:73], v[58:59], s[12:13]
	v_add_f64 v[44:45], v[78:79], v[44:45]
	v_mul_f64 v[78:79], v[82:83], s[16:17]
	v_mul_f64 v[82:83], v[40:41], s[6:7]
	;; [unrolled: 1-line block ×3, first 2 shown]
	v_add_f64 v[0:1], v[0:1], v[36:37]
	v_add_f64 v[2:3], v[2:3], v[38:39]
	v_fma_f64 v[56:57], v[56:57], s[12:13], v[52:53]
	v_fma_f64 v[62:63], v[74:75], s[20:21], -v[62:63]
	v_fma_f64 v[58:59], v[58:59], s[12:13], v[54:55]
	v_fma_f64 v[52:53], v[74:75], s[22:23], -v[52:53]
	v_fma_f64 v[42:43], v[42:43], s[6:7], -v[80:81]
	;; [unrolled: 1-line block ×4, first 2 shown]
	v_fma_f64 v[74:75], v[32:33], s[26:27], v[78:79]
	v_fma_f64 v[76:77], v[34:35], s[26:27], v[80:81]
	v_fma_f64 v[32:33], v[32:33], s[28:29], -v[82:83]
	v_fma_f64 v[34:35], v[34:35], s[28:29], -v[89:90]
	;; [unrolled: 1-line block ×3, first 2 shown]
	v_fma_f64 v[36:37], v[36:37], s[18:19], v[0:1]
	v_fma_f64 v[38:39], v[38:39], s[18:19], v[2:3]
	;; [unrolled: 1-line block ×8, first 2 shown]
	v_add_f64 v[62:63], v[62:63], v[36:37]
	v_add_f64 v[56:57], v[56:57], v[36:37]
	;; [unrolled: 1-line block ×6, first 2 shown]
	v_add_f64 v[40:41], v[62:63], -v[80:81]
	v_add_f64 v[44:45], v[80:81], v[62:63]
	v_mov_b32_e32 v62, 0x9a
	v_add_f64 v[32:33], v[76:77], v[56:57]
	v_add_f64 v[36:37], v[89:90], v[52:53]
	v_add_f64 v[34:35], v[58:59], -v[74:75]
	v_add_f64 v[38:39], v[54:55], -v[82:83]
	v_mul_u32_u24_sdwa v48, v48, v62 dst_sel:DWORD dst_unused:UNUSED_PAD src0_sel:WORD_0 src1_sel:DWORD
	v_add_f64 v[42:43], v[78:79], v[72:73]
	v_add_f64 v[46:47], v[72:73], -v[78:79]
	v_add_f64 v[52:53], v[52:53], -v[89:90]
	v_add_f64 v[54:55], v[82:83], v[54:55]
	v_add_nc_u32_e32 v48, v48, v49
	v_add_f64 v[56:57], v[56:57], -v[76:77]
	v_add_f64 v[58:59], v[74:75], v[58:59]
	v_lshl_add_u32 v93, v48, 4, v64
	ds_write_b128 v93, v[4:7]
	ds_write_b128 v93, v[8:11] offset:352
	ds_write_b128 v93, v[12:15] offset:704
	;; [unrolled: 1-line block ×6, first 2 shown]
	v_mul_u32_u24_sdwa v4, v50, v62 dst_sel:DWORD dst_unused:UNUSED_PAD src0_sel:WORD_0 src1_sel:DWORD
	v_add_nc_u32_e32 v4, v4, v51
	v_lshl_add_u32 v92, v4, 4, v64
	ds_write_b128 v92, v[0:3]
	ds_write_b128 v92, v[32:35] offset:352
	ds_write_b128 v92, v[36:39] offset:704
	;; [unrolled: 1-line block ×6, first 2 shown]
	v_mad_u64_u32 v[32:33], null, 0x60, v95, s[2:3]
	s_waitcnt lgkmcnt(0)
	s_barrier
	buffer_gl0_inv
	ds_read_b128 v[12:15], v91
	ds_read_b128 v[252:255], v91 offset:2464
	ds_read_b128 v[248:251], v91 offset:4928
	;; [unrolled: 1-line block ×13, first 2 shown]
	v_add_co_u32 v34, s0, 0x980, v32
	v_add_co_ci_u32_e64 v35, s0, 0, v33, s0
	v_add_co_u32 v50, s0, 0x800, v32
	v_add_co_ci_u32_e64 v51, s0, 0, v33, s0
	s_clause 0x3
	global_load_dwordx4 v[224:227], v[50:51], off offset:384
	global_load_dwordx4 v[216:219], v[34:35], off offset:48
	;; [unrolled: 1-line block ×4, first 2 shown]
	v_add_co_u32 v52, s0, 0x9c0, v32
	v_add_co_ci_u32_e64 v53, s0, 0, v33, s0
	v_add_co_u32 v58, s0, 0x2660, v32
	v_add_co_ci_u32_e64 v59, s0, 0, v33, s0
	;; [unrolled: 2-line block ×3, first 2 shown]
	s_waitcnt vmcnt(3) lgkmcnt(12)
	v_mul_f64 v[34:35], v[254:255], v[226:227]
	s_waitcnt vmcnt(2) lgkmcnt(9)
	v_mul_f64 v[38:39], v[234:235], v[218:219]
	s_waitcnt vmcnt(1)
	v_mul_f64 v[36:37], v[236:237], v[222:223]
	v_mul_f64 v[40:41], v[232:233], v[218:219]
	v_fma_f64 v[46:47], v[252:253], v[224:225], -v[34:35]
	v_mul_f64 v[34:35], v[252:253], v[226:227]
	v_fma_f64 v[36:37], v[238:239], v[220:221], v[36:37]
	v_fma_f64 v[38:39], v[232:233], v[216:217], -v[38:39]
	v_fma_f64 v[40:41], v[234:235], v[216:217], v[40:41]
	v_fma_f64 v[48:49], v[254:255], v[224:225], v[34:35]
	s_waitcnt vmcnt(0)
	v_mul_f64 v[34:35], v[250:251], v[230:231]
	v_fma_f64 v[42:43], v[248:249], v[228:229], -v[34:35]
	v_mul_f64 v[34:35], v[248:249], v[230:231]
	v_fma_f64 v[44:45], v[250:251], v[228:229], v[34:35]
	v_mul_f64 v[34:35], v[238:239], v[222:223]
	v_fma_f64 v[34:35], v[236:237], v[220:221], -v[34:35]
	s_clause 0x1
	global_load_dwordx4 v[232:235], v[50:51], off offset:448
	global_load_dwordx4 v[236:239], v[52:53], off offset:16
	s_waitcnt vmcnt(1) lgkmcnt(8)
	v_mul_f64 v[50:51], v[246:247], v[234:235]
	v_mul_f64 v[52:53], v[244:245], v[234:235]
	s_waitcnt vmcnt(0) lgkmcnt(7)
	v_mul_f64 v[54:55], v[242:243], v[238:239]
	v_mul_f64 v[56:57], v[240:241], v[238:239]
	v_fma_f64 v[50:51], v[244:245], v[232:233], -v[50:51]
	v_fma_f64 v[52:53], v[246:247], v[232:233], v[52:53]
	v_fma_f64 v[54:55], v[240:241], v[236:237], -v[54:55]
	v_fma_f64 v[56:57], v[242:243], v[236:237], v[56:57]
	s_clause 0x3
	global_load_dwordx4 v[252:255], v[62:63], off offset:1632
	global_load_dwordx4 v[240:243], v[58:59], off offset:48
	;; [unrolled: 1-line block ×4, first 2 shown]
	s_waitcnt vmcnt(3) lgkmcnt(5)
	v_mul_f64 v[58:59], v[30:31], v[254:255]
	v_fma_f64 v[76:77], v[28:29], v[252:253], -v[58:59]
	v_mul_f64 v[28:29], v[28:29], v[254:255]
	v_fma_f64 v[28:29], v[30:31], v[252:253], v[28:29]
	s_waitcnt vmcnt(0) lgkmcnt(4)
	v_mul_f64 v[30:31], v[26:27], v[250:251]
	v_fma_f64 v[30:31], v[24:25], v[248:249], -v[30:31]
	v_mul_f64 v[24:25], v[24:25], v[250:251]
	v_fma_f64 v[24:25], v[26:27], v[248:249], v[24:25]
	s_waitcnt lgkmcnt(3)
	v_mul_f64 v[26:27], v[6:7], v[246:247]
	v_fma_f64 v[26:27], v[4:5], v[244:245], -v[26:27]
	v_mul_f64 v[4:5], v[4:5], v[246:247]
	v_fma_f64 v[78:79], v[6:7], v[244:245], v[4:5]
	s_waitcnt lgkmcnt(2)
	v_mul_f64 v[4:5], v[2:3], v[242:243]
	v_fma_f64 v[80:81], v[0:1], v[240:241], -v[4:5]
	v_mul_f64 v[0:1], v[0:1], v[242:243]
	v_add_co_u32 v4, s0, 0x26a0, v32
	v_add_co_ci_u32_e64 v5, s0, 0, v33, s0
	v_fma_f64 v[82:83], v[2:3], v[240:241], v[0:1]
	s_clause 0x1
	global_load_dwordx4 v[0:3], v[62:63], off offset:1696
	global_load_dwordx4 v[4:7], v[4:5], off offset:16
	s_waitcnt vmcnt(1) lgkmcnt(1)
	v_mul_f64 v[32:33], v[22:23], v[2:3]
	v_fma_f64 v[32:33], v[20:21], v[0:1], -v[32:33]
	v_mul_f64 v[20:21], v[20:21], v[2:3]
	v_fma_f64 v[62:63], v[22:23], v[0:1], v[20:21]
	s_waitcnt vmcnt(0) lgkmcnt(0)
	v_mul_f64 v[20:21], v[18:19], v[6:7]
	v_add_f64 v[22:23], v[48:49], -v[56:57]
	v_fma_f64 v[89:90], v[16:17], v[4:5], -v[20:21]
	v_mul_f64 v[16:17], v[16:17], v[6:7]
	v_add_f64 v[20:21], v[46:47], -v[54:55]
	v_fma_f64 v[84:85], v[18:19], v[4:5], v[16:17]
	v_add_f64 v[16:17], v[46:47], v[54:55]
	v_add_f64 v[18:19], v[48:49], v[56:57]
	;; [unrolled: 1-line block ×4, first 2 shown]
	v_add_f64 v[42:43], v[42:43], -v[50:51]
	v_add_f64 v[44:45], v[44:45], -v[52:53]
	v_add_f64 v[50:51], v[34:35], v[38:39]
	v_add_f64 v[52:53], v[36:37], v[40:41]
	v_add_f64 v[34:35], v[38:39], -v[34:35]
	v_add_f64 v[36:37], v[40:41], -v[36:37]
	v_add_f64 v[38:39], v[46:47], v[16:17]
	v_add_f64 v[40:41], v[48:49], v[18:19]
	v_add_f64 v[54:55], v[46:47], -v[16:17]
	v_add_f64 v[56:57], v[48:49], -v[18:19]
	;; [unrolled: 1-line block ×6, first 2 shown]
	v_add_f64 v[72:73], v[36:37], v[44:45]
	v_add_f64 v[86:87], v[34:35], -v[42:43]
	v_add_f64 v[64:65], v[36:37], -v[44:45]
	v_add_f64 v[58:59], v[34:35], v[42:43]
	v_add_f64 v[42:43], v[42:43], -v[20:21]
	v_add_f64 v[44:45], v[44:45], -v[22:23]
	;; [unrolled: 1-line block ×4, first 2 shown]
	v_add_f64 v[38:39], v[50:51], v[38:39]
	v_add_f64 v[40:41], v[52:53], v[40:41]
	;; [unrolled: 1-line block ×3, first 2 shown]
	v_mul_f64 v[50:51], v[86:87], s[16:17]
	v_mul_f64 v[52:53], v[64:65], s[16:17]
	v_add_f64 v[20:21], v[58:59], v[20:21]
	v_mul_f64 v[58:59], v[42:43], s[6:7]
	v_mul_f64 v[64:65], v[44:45], s[6:7]
	v_add_f64 v[72:73], v[12:13], v[38:39]
	v_add_f64 v[74:75], v[14:15], v[40:41]
	v_mul_f64 v[12:13], v[16:17], s[14:15]
	v_mul_f64 v[14:15], v[18:19], s[14:15]
	;; [unrolled: 1-line block ×4, first 2 shown]
	v_fma_f64 v[42:43], v[42:43], s[6:7], -v[50:51]
	v_fma_f64 v[44:45], v[44:45], s[6:7], -v[52:53]
	v_fma_f64 v[38:39], v[38:39], s[18:19], v[72:73]
	v_fma_f64 v[40:41], v[40:41], s[18:19], v[74:75]
	;; [unrolled: 1-line block ×4, first 2 shown]
	v_fma_f64 v[16:17], v[54:55], s[20:21], -v[16:17]
	v_fma_f64 v[18:19], v[56:57], s[20:21], -v[18:19]
	v_fma_f64 v[12:13], v[54:55], s[22:23], -v[12:13]
	v_fma_f64 v[14:15], v[56:57], s[22:23], -v[14:15]
	v_fma_f64 v[54:55], v[34:35], s[26:27], v[50:51]
	v_fma_f64 v[56:57], v[36:37], s[26:27], v[52:53]
	v_fma_f64 v[34:35], v[34:35], s[28:29], -v[58:59]
	v_fma_f64 v[36:37], v[36:37], s[28:29], -v[64:65]
	v_add_f64 v[46:47], v[46:47], v[38:39]
	v_add_f64 v[64:65], v[48:49], v[40:41]
	;; [unrolled: 1-line block ×6, first 2 shown]
	v_fma_f64 v[66:67], v[20:21], s[24:25], v[54:55]
	v_fma_f64 v[86:87], v[22:23], s[24:25], v[56:57]
	;; [unrolled: 1-line block ×6, first 2 shown]
	v_add_f64 v[34:35], v[76:77], v[89:90]
	v_add_f64 v[36:37], v[28:29], v[84:85]
	;; [unrolled: 1-line block ×3, first 2 shown]
	v_add_f64 v[24:25], v[24:25], -v[62:63]
	v_add_f64 v[44:45], v[78:79], v[82:83]
	v_add_f64 v[28:29], v[28:29], -v[84:85]
	v_add_f64 v[50:51], v[64:65], -v[66:67]
	v_add_f64 v[48:49], v[86:87], v[46:47]
	v_add_f64 v[58:59], v[14:15], v[18:19]
	v_add_f64 v[56:57], v[16:17], -v[12:13]
	v_add_f64 v[54:55], v[40:41], -v[20:21]
	v_add_f64 v[52:53], v[22:23], v[38:39]
	ds_write_b128 v91, v[72:75]
	ds_write_b128 v91, v[48:51] offset:2464
	ds_write_b128 v91, v[52:55] offset:4928
	;; [unrolled: 1-line block ×3, first 2 shown]
	buffer_load_dword v48, off, s[40:43], 0 offset:4 ; 4-byte Folded Reload
	v_add_f64 v[14:15], v[18:19], -v[14:15]
	v_add_f64 v[18:19], v[20:21], v[40:41]
	v_add_f64 v[40:41], v[30:31], v[32:33]
	;; [unrolled: 1-line block ×3, first 2 shown]
	v_add_f64 v[16:17], v[38:39], -v[22:23]
	v_add_f64 v[20:21], v[46:47], -v[86:87]
	v_add_f64 v[22:23], v[66:67], v[64:65]
	v_add_f64 v[30:31], v[30:31], -v[32:33]
	v_add_f64 v[32:33], v[26:27], v[80:81]
	v_add_f64 v[26:27], v[80:81], -v[26:27]
	v_add_f64 v[46:47], v[82:83], -v[78:79]
	v_add_f64 v[64:65], v[42:43], v[36:37]
	v_add_f64 v[38:39], v[76:77], -v[89:90]
	v_add_f64 v[76:77], v[42:43], -v[36:37]
	;; [unrolled: 1-line block ×4, first 2 shown]
	v_add_f64 v[62:63], v[40:41], v[34:35]
	v_add_f64 v[66:67], v[40:41], -v[34:35]
	v_add_f64 v[34:35], v[34:35], -v[32:33]
	;; [unrolled: 1-line block ×3, first 2 shown]
	v_add_f64 v[78:79], v[26:27], v[30:31]
	v_add_f64 v[80:81], v[46:47], v[24:25]
	v_add_f64 v[82:83], v[26:27], -v[30:31]
	v_add_f64 v[84:85], v[46:47], -v[24:25]
	v_add_f64 v[44:45], v[44:45], v[64:65]
	v_add_f64 v[30:31], v[30:31], -v[38:39]
	v_add_f64 v[24:25], v[24:25], -v[28:29]
	;; [unrolled: 1-line block ×4, first 2 shown]
	v_mul_f64 v[36:37], v[36:37], s[14:15]
	v_mul_f64 v[64:65], v[42:43], s[12:13]
	v_add_f64 v[32:33], v[32:33], v[62:63]
	v_mul_f64 v[34:35], v[34:35], s[14:15]
	v_mul_f64 v[62:63], v[40:41], s[12:13]
	v_add_f64 v[38:39], v[78:79], v[38:39]
	v_add_f64 v[28:29], v[80:81], v[28:29]
	v_mul_f64 v[78:79], v[82:83], s[16:17]
	v_mul_f64 v[80:81], v[84:85], s[16:17]
	v_add_f64 v[10:11], v[10:11], v[44:45]
	v_mul_f64 v[82:83], v[30:31], s[6:7]
	v_mul_f64 v[84:85], v[24:25], s[6:7]
	v_fma_f64 v[42:43], v[42:43], s[12:13], v[36:37]
	v_fma_f64 v[64:65], v[76:77], s[20:21], -v[64:65]
	v_fma_f64 v[36:37], v[76:77], s[22:23], -v[36:37]
	v_add_f64 v[8:9], v[8:9], v[32:33]
	v_fma_f64 v[40:41], v[40:41], s[12:13], v[34:35]
	v_fma_f64 v[62:63], v[66:67], s[20:21], -v[62:63]
	v_fma_f64 v[34:35], v[66:67], s[22:23], -v[34:35]
	v_fma_f64 v[66:67], v[26:27], s[26:27], v[78:79]
	v_fma_f64 v[76:77], v[46:47], s[26:27], v[80:81]
	;; [unrolled: 1-line block ×3, first 2 shown]
	v_fma_f64 v[26:27], v[26:27], s[28:29], -v[82:83]
	v_fma_f64 v[46:47], v[46:47], s[28:29], -v[84:85]
	;; [unrolled: 1-line block ×4, first 2 shown]
	v_fma_f64 v[32:33], v[32:33], s[18:19], v[8:9]
	v_fma_f64 v[66:67], v[38:39], s[24:25], v[66:67]
	;; [unrolled: 1-line block ×3, first 2 shown]
	v_add_f64 v[42:43], v[42:43], v[44:45]
	v_fma_f64 v[80:81], v[38:39], s[24:25], v[26:27]
	v_fma_f64 v[82:83], v[28:29], s[24:25], v[46:47]
	v_add_f64 v[64:65], v[64:65], v[44:45]
	v_fma_f64 v[78:79], v[38:39], s[24:25], v[30:31]
	v_fma_f64 v[24:25], v[28:29], s[24:25], v[24:25]
	v_add_f64 v[40:41], v[40:41], v[32:33]
	v_add_f64 v[62:63], v[62:63], v[32:33]
	;; [unrolled: 1-line block ×4, first 2 shown]
	v_add_f64 v[30:31], v[42:43], -v[66:67]
	v_add_f64 v[42:43], v[66:67], v[42:43]
	v_add_f64 v[46:47], v[78:79], v[64:65]
	v_add_f64 v[26:27], v[64:65], -v[78:79]
	v_add_f64 v[28:29], v[76:77], v[40:41]
	v_add_f64 v[44:45], v[62:63], -v[24:25]
	;; [unrolled: 2-line block ×5, first 2 shown]
	s_waitcnt vmcnt(0)
	v_lshl_add_u32 v48, v95, 4, v48
	ds_write_b128 v48, v[12:15] offset:9856
	ds_write_b128 v48, v[16:19] offset:12320
	buffer_store_dword v48, off, s[40:43], 0 offset:260 ; 4-byte Folded Spill
	ds_write_b128 v48, v[20:23] offset:14784
	ds_write_b128 v91, v[8:11] offset:1232
	;; [unrolled: 1-line block ×8, first 2 shown]
	v_add_co_u32 v22, s0, 0x4360, v60
	v_add_co_ci_u32_e64 v23, s0, 0, v61, s0
	v_add_co_u32 v12, s0, 0x4000, v60
	v_add_co_ci_u32_e64 v13, s0, 0, v61, s0
	s_waitcnt lgkmcnt(0)
	s_waitcnt_vscnt null, 0x0
	s_barrier
	buffer_gl0_inv
	global_load_dwordx4 v[12:15], v[12:13], off offset:864
	ds_read_b128 v[8:11], v91
	s_waitcnt vmcnt(0) lgkmcnt(0)
	v_mul_f64 v[16:17], v[10:11], v[14:15]
	v_fma_f64 v[16:17], v[8:9], v[12:13], -v[16:17]
	v_mul_f64 v[8:9], v[8:9], v[14:15]
	v_fma_f64 v[18:19], v[10:11], v[12:13], v[8:9]
	v_add_co_u32 v8, s0, 0x6000, v60
	v_add_co_ci_u32_e64 v9, s0, 0, v61, s0
	ds_read_b128 v[10:13], v91 offset:8624
	ds_write_b128 v91, v[16:19]
	global_load_dwordx4 v[14:17], v[8:9], off offset:1296
	s_waitcnt vmcnt(0) lgkmcnt(1)
	v_mul_f64 v[18:19], v[12:13], v[16:17]
	v_fma_f64 v[18:19], v[10:11], v[14:15], -v[18:19]
	v_mul_f64 v[10:11], v[10:11], v[16:17]
	v_fma_f64 v[20:21], v[12:13], v[14:15], v[10:11]
	global_load_dwordx4 v[14:17], v[22:23], off offset:1232
	ds_read_b128 v[10:13], v91 offset:1232
	v_add_co_u32 v22, s0, 0x6800, v60
	v_add_co_ci_u32_e64 v23, s0, 0, v61, s0
	ds_write_b128 v91, v[18:21] offset:8624
	s_waitcnt vmcnt(0) lgkmcnt(1)
	v_mul_f64 v[18:19], v[12:13], v[16:17]
	v_fma_f64 v[18:19], v[10:11], v[14:15], -v[18:19]
	v_mul_f64 v[10:11], v[10:11], v[16:17]
	v_fma_f64 v[20:21], v[12:13], v[14:15], v[10:11]
	global_load_dwordx4 v[14:17], v[22:23], off offset:480
	ds_read_b128 v[10:13], v91 offset:9856
	ds_write_b128 v91, v[18:21] offset:1232
	s_waitcnt vmcnt(0) lgkmcnt(1)
	v_mul_f64 v[18:19], v[12:13], v[16:17]
	v_fma_f64 v[18:19], v[10:11], v[14:15], -v[18:19]
	v_mul_f64 v[10:11], v[10:11], v[16:17]
	v_fma_f64 v[20:21], v[12:13], v[14:15], v[10:11]
	v_add_co_u32 v14, s0, 0x4800, v60
	v_add_co_ci_u32_e64 v15, s0, 0, v61, s0
	ds_read_b128 v[10:13], v91 offset:2464
	global_load_dwordx4 v[14:17], v[14:15], off offset:1280
	ds_write_b128 v91, v[18:21] offset:9856
	s_waitcnt vmcnt(0) lgkmcnt(1)
	v_mul_f64 v[18:19], v[12:13], v[16:17]
	v_fma_f64 v[18:19], v[10:11], v[14:15], -v[18:19]
	v_mul_f64 v[10:11], v[10:11], v[16:17]
	v_fma_f64 v[20:21], v[12:13], v[14:15], v[10:11]
	global_load_dwordx4 v[14:17], v[22:23], off offset:1712
	ds_read_b128 v[10:13], v91 offset:11088
	v_add_co_u32 v22, s0, 0x5000, v60
	v_add_co_ci_u32_e64 v23, s0, 0, v61, s0
	ds_write_b128 v91, v[18:21] offset:2464
	s_waitcnt vmcnt(0) lgkmcnt(1)
	v_mul_f64 v[18:19], v[12:13], v[16:17]
	v_fma_f64 v[18:19], v[10:11], v[14:15], -v[18:19]
	v_mul_f64 v[10:11], v[10:11], v[16:17]
	v_fma_f64 v[20:21], v[12:13], v[14:15], v[10:11]
	global_load_dwordx4 v[14:17], v[22:23], off offset:464
	ds_read_b128 v[10:13], v91 offset:3696
	ds_write_b128 v91, v[18:21] offset:11088
	s_waitcnt vmcnt(0) lgkmcnt(1)
	v_mul_f64 v[18:19], v[12:13], v[16:17]
	v_fma_f64 v[18:19], v[10:11], v[14:15], -v[18:19]
	v_mul_f64 v[10:11], v[10:11], v[16:17]
	v_fma_f64 v[20:21], v[12:13], v[14:15], v[10:11]
	v_add_co_u32 v14, s0, 0x7000, v60
	v_add_co_ci_u32_e64 v15, s0, 0, v61, s0
	ds_read_b128 v[10:13], v91 offset:12320
	global_load_dwordx4 v[14:17], v[14:15], off offset:896
	ds_write_b128 v91, v[18:21] offset:3696
	;; [unrolled: 28-line block ×3, first 2 shown]
	s_waitcnt vmcnt(0) lgkmcnt(1)
	v_mul_f64 v[18:19], v[12:13], v[16:17]
	v_fma_f64 v[18:19], v[10:11], v[14:15], -v[18:19]
	v_mul_f64 v[10:11], v[10:11], v[16:17]
	v_fma_f64 v[20:21], v[12:13], v[14:15], v[10:11]
	global_load_dwordx4 v[14:17], v[22:23], off offset:1312
	ds_read_b128 v[10:13], v91 offset:14784
	ds_write_b128 v91, v[18:21] offset:6160
	s_waitcnt vmcnt(0) lgkmcnt(1)
	v_mul_f64 v[18:19], v[12:13], v[16:17]
	v_fma_f64 v[18:19], v[10:11], v[14:15], -v[18:19]
	v_mul_f64 v[10:11], v[10:11], v[16:17]
	v_fma_f64 v[20:21], v[12:13], v[14:15], v[10:11]
	global_load_dwordx4 v[14:17], v[8:9], off offset:64
	ds_read_b128 v[10:13], v91 offset:7392
	ds_write_b128 v91, v[18:21] offset:14784
	s_waitcnt vmcnt(0) lgkmcnt(1)
	v_mul_f64 v[8:9], v[12:13], v[16:17]
	v_fma_f64 v[8:9], v[10:11], v[14:15], -v[8:9]
	v_mul_f64 v[10:11], v[10:11], v[16:17]
	v_fma_f64 v[10:11], v[12:13], v[14:15], v[10:11]
	v_add_co_u32 v12, s0, 0x8000, v60
	v_add_co_ci_u32_e64 v13, s0, 0, v61, s0
	global_load_dwordx4 v[12:15], v[12:13], off offset:496
	ds_write_b128 v91, v[8:11] offset:7392
	ds_read_b128 v[8:11], v91 offset:16016
	s_waitcnt vmcnt(0) lgkmcnt(0)
	v_mul_f64 v[16:17], v[10:11], v[14:15]
	v_fma_f64 v[16:17], v[8:9], v[12:13], -v[16:17]
	v_mul_f64 v[8:9], v[8:9], v[14:15]
	v_fma_f64 v[18:19], v[10:11], v[12:13], v[8:9]
	ds_write_b128 v91, v[16:19] offset:16016
	s_waitcnt lgkmcnt(0)
	s_barrier
	buffer_gl0_inv
	ds_read_b128 v[8:11], v91
	ds_read_b128 v[12:15], v91 offset:8624
	ds_read_b128 v[16:19], v91 offset:1232
	;; [unrolled: 1-line block ×13, first 2 shown]
	s_waitcnt lgkmcnt(0)
	s_barrier
	buffer_gl0_inv
	v_add_f64 v[72:73], v[8:9], -v[12:13]
	v_add_f64 v[74:75], v[10:11], -v[14:15]
	;; [unrolled: 1-line block ×12, first 2 shown]
	v_fma_f64 v[76:77], v[8:9], 2.0, -v[72:73]
	v_add_f64 v[8:9], v[48:49], -v[52:53]
	buffer_load_dword v52, off, s[40:43], 0 offset:236 ; 4-byte Folded Reload
	v_fma_f64 v[78:79], v[10:11], 2.0, -v[74:75]
	v_fma_f64 v[80:81], v[16:17], 2.0, -v[20:21]
	;; [unrolled: 1-line block ×9, first 2 shown]
	v_add_f64 v[10:11], v[50:51], -v[54:55]
	v_fma_f64 v[16:17], v[56:57], 2.0, -v[12:13]
	v_fma_f64 v[18:19], v[58:59], 2.0, -v[14:15]
	s_waitcnt vmcnt(0)
	ds_write_b128 v52, v[76:79]
	ds_write_b128 v52, v[72:75] offset:16
	buffer_load_dword v52, off, s[40:43], 0 offset:232 ; 4-byte Folded Reload
	v_fma_f64 v[48:49], v[48:49], 2.0, -v[8:9]
	v_fma_f64 v[50:51], v[50:51], 2.0, -v[10:11]
	s_waitcnt vmcnt(0)
	ds_write_b128 v52, v[80:83]
	ds_write_b128 v52, v[20:23] offset:16
	buffer_load_dword v20, off, s[40:43], 0 offset:256 ; 4-byte Folded Reload
	s_waitcnt vmcnt(0)
	ds_write_b128 v20, v[24:27]
	ds_write_b128 v20, v[28:31] offset:16
	buffer_load_dword v20, off, s[40:43], 0 offset:252 ; 4-byte Folded Reload
	;; [unrolled: 4-line block ×5, first 2 shown]
	s_waitcnt vmcnt(0)
	ds_write_b128 v20, v[16:19]
	ds_write_b128 v20, v[12:15] offset:16
	s_waitcnt lgkmcnt(0)
	s_barrier
	buffer_gl0_inv
	ds_read_b128 v[20:23], v91
	ds_read_b128 v[60:63], v91 offset:1568
	ds_read_b128 v[56:59], v91 offset:3136
	;; [unrolled: 1-line block ×10, first 2 shown]
	s_and_saveexec_b32 s0, vcc_lo
	s_cbranch_execz .LBB0_7
; %bb.6:
	ds_read_b128 v[8:11], v91 offset:1232
	ds_read_b128 v[16:19], v91 offset:2800
	ds_read_b128 v[12:15], v91 offset:4368
	ds_read_b128 v[184:187], v91 offset:5936
	ds_read_b128 v[200:203], v91 offset:7504
	ds_read_b128 v[208:211], v91 offset:9072
	ds_read_b128 v[212:215], v91 offset:10640
	ds_read_b128 v[204:207], v91 offset:12208
	ds_read_b128 v[196:199], v91 offset:13776
	ds_read_b128 v[192:195], v91 offset:15344
	ds_read_b128 v[188:191], v91 offset:16912
.LBB0_7:
	s_or_b32 exec_lo, exec_lo, s0
	s_waitcnt lgkmcnt(9)
	v_mul_f64 v[64:65], v[126:127], v[62:63]
	s_mov_b32 s34, 0xf8bb580b
	s_mov_b32 s26, 0x8eee2c13
	;; [unrolled: 1-line block ×21, first 2 shown]
	v_fma_f64 v[64:65], v[124:125], v[60:61], v[64:65]
	v_mul_f64 v[60:61], v[126:127], v[60:61]
	s_mov_b32 s2, s34
	s_mov_b32 s15, 0x3fed1bb4
	;; [unrolled: 1-line block ×9, first 2 shown]
	v_add_nc_u32_e32 v95, 0x4d0, v91
	s_waitcnt lgkmcnt(0)
	s_barrier
	buffer_gl0_inv
	v_fma_f64 v[62:63], v[124:125], v[62:63], -v[60:61]
	v_mul_f64 v[60:61], v[114:115], v[58:59]
	v_add_f64 v[66:67], v[22:23], v[62:63]
	v_fma_f64 v[60:61], v[112:113], v[56:57], v[60:61]
	v_mul_f64 v[56:57], v[114:115], v[56:57]
	v_fma_f64 v[58:59], v[112:113], v[58:59], -v[56:57]
	v_mul_f64 v[56:57], v[106:107], v[54:55]
	v_add_f64 v[66:67], v[66:67], v[58:59]
	v_fma_f64 v[56:57], v[104:105], v[52:53], v[56:57]
	v_mul_f64 v[52:53], v[106:107], v[52:53]
	;; [unrolled: 5-line block ×9, first 2 shown]
	v_fma_f64 v[24:25], v[120:121], v[26:27], -v[24:25]
	v_add_f64 v[26:27], v[20:21], v[64:65]
	v_add_f64 v[98:99], v[66:67], v[24:25]
	;; [unrolled: 1-line block ×4, first 2 shown]
	v_add_f64 v[24:25], v[62:63], -v[24:25]
	v_add_f64 v[26:27], v[26:27], v[56:57]
	v_mul_f64 v[72:73], v[66:67], s[0:1]
	v_mul_f64 v[62:63], v[24:25], s[34:35]
	;; [unrolled: 1-line block ×10, first 2 shown]
	v_add_f64 v[26:27], v[26:27], v[52:53]
	v_add_f64 v[26:27], v[26:27], v[48:49]
	;; [unrolled: 1-line block ×8, first 2 shown]
	v_add_f64 v[30:31], v[64:65], -v[30:31]
	v_fma_f64 v[64:65], v[26:27], s[0:1], v[62:63]
	v_fma_f64 v[62:63], v[26:27], s[0:1], -v[62:63]
	v_fma_f64 v[78:79], v[26:27], s[6:7], v[76:77]
	v_fma_f64 v[76:77], v[26:27], s[6:7], -v[76:77]
	;; [unrolled: 2-line block ×5, first 2 shown]
	v_fma_f64 v[74:75], v[30:31], s[2:3], v[72:73]
	v_fma_f64 v[72:73], v[30:31], s[34:35], v[72:73]
	;; [unrolled: 1-line block ×9, first 2 shown]
	v_add_f64 v[26:27], v[58:59], v[28:29]
	v_add_f64 v[28:29], v[58:59], -v[28:29]
	v_add_f64 v[64:65], v[20:21], v[64:65]
	v_add_f64 v[62:63], v[20:21], v[62:63]
	;; [unrolled: 1-line block ×10, first 2 shown]
	v_fma_f64 v[24:25], v[30:31], s[28:29], v[66:67]
	v_add_f64 v[74:75], v[22:23], v[74:75]
	v_add_f64 v[72:73], v[22:23], v[72:73]
	;; [unrolled: 1-line block ×9, first 2 shown]
	v_add_f64 v[30:31], v[60:61], -v[34:35]
	v_add_f64 v[22:23], v[22:23], v[24:25]
	v_add_f64 v[24:25], v[60:61], v[34:35]
	v_mul_f64 v[34:35], v[28:29], s[26:27]
	v_mul_f64 v[60:61], v[26:27], s[6:7]
	v_fma_f64 v[58:59], v[24:25], s[6:7], v[34:35]
	v_fma_f64 v[34:35], v[24:25], s[6:7], -v[34:35]
	v_add_f64 v[58:59], v[58:59], v[64:65]
	v_add_f64 v[34:35], v[34:35], v[62:63]
	v_mul_f64 v[62:63], v[28:29], s[24:25]
	v_fma_f64 v[64:65], v[30:31], s[14:15], v[60:61]
	v_fma_f64 v[60:61], v[30:31], s[26:27], v[60:61]
	;; [unrolled: 1-line block ×3, first 2 shown]
	v_fma_f64 v[62:63], v[24:25], s[16:17], -v[62:63]
	v_add_f64 v[60:61], v[60:61], v[72:73]
	v_mul_f64 v[72:73], v[26:27], s[16:17]
	v_add_f64 v[64:65], v[64:65], v[74:75]
	v_add_f64 v[66:67], v[66:67], v[78:79]
	;; [unrolled: 1-line block ×3, first 2 shown]
	v_mul_f64 v[76:77], v[28:29], s[30:31]
	v_fma_f64 v[74:75], v[30:31], s[36:37], v[72:73]
	v_fma_f64 v[72:73], v[30:31], s[24:25], v[72:73]
	;; [unrolled: 1-line block ×3, first 2 shown]
	v_fma_f64 v[76:77], v[24:25], s[20:21], -v[76:77]
	v_add_f64 v[72:73], v[72:73], v[80:81]
	v_mul_f64 v[80:81], v[26:27], s[20:21]
	v_add_f64 v[74:75], v[74:75], v[82:83]
	v_add_f64 v[78:79], v[78:79], v[86:87]
	;; [unrolled: 1-line block ×3, first 2 shown]
	v_mul_f64 v[84:85], v[28:29], s[18:19]
	v_fma_f64 v[82:83], v[30:31], s[28:29], v[80:81]
	v_fma_f64 v[80:81], v[30:31], s[30:31], v[80:81]
	v_mul_f64 v[28:29], v[28:29], s[2:3]
	v_fma_f64 v[86:87], v[24:25], s[12:13], v[84:85]
	v_fma_f64 v[84:85], v[24:25], s[12:13], -v[84:85]
	v_add_f64 v[80:81], v[80:81], v[89:90]
	v_mul_f64 v[89:90], v[26:27], s[12:13]
	v_mul_f64 v[26:27], v[26:27], s[0:1]
	v_add_f64 v[82:83], v[82:83], v[100:101]
	v_add_f64 v[86:87], v[86:87], v[104:105]
	;; [unrolled: 1-line block ×3, first 2 shown]
	v_fma_f64 v[102:103], v[24:25], s[0:1], v[28:29]
	v_fma_f64 v[24:25], v[24:25], s[0:1], -v[28:29]
	v_add_f64 v[28:29], v[54:55], -v[32:33]
	v_fma_f64 v[100:101], v[30:31], s[22:23], v[89:90]
	v_fma_f64 v[89:90], v[30:31], s[18:19], v[89:90]
	;; [unrolled: 1-line block ×3, first 2 shown]
	v_add_f64 v[102:103], v[102:103], v[110:111]
	v_add_f64 v[24:25], v[24:25], v[20:21]
	v_fma_f64 v[20:21], v[30:31], s[2:3], v[26:27]
	v_mul_f64 v[30:31], v[28:29], s[22:23]
	v_add_f64 v[100:101], v[100:101], v[108:109]
	v_add_f64 v[89:90], v[89:90], v[106:107]
	v_add_f64 v[106:107], v[56:57], -v[38:39]
	v_add_f64 v[104:105], v[104:105], v[112:113]
	v_add_f64 v[26:27], v[20:21], v[22:23]
	;; [unrolled: 1-line block ×4, first 2 shown]
	v_fma_f64 v[32:33], v[22:23], s[12:13], v[30:31]
	v_fma_f64 v[30:31], v[22:23], s[12:13], -v[30:31]
	v_add_f64 v[108:109], v[32:33], v[58:59]
	v_mul_f64 v[32:33], v[20:21], s[12:13]
	v_add_f64 v[110:111], v[30:31], v[34:35]
	v_fma_f64 v[30:31], v[106:107], s[22:23], v[32:33]
	v_fma_f64 v[38:39], v[106:107], s[18:19], v[32:33]
	v_add_f64 v[112:113], v[30:31], v[60:61]
	v_mul_f64 v[30:31], v[28:29], s[30:31]
	v_add_f64 v[64:65], v[38:39], v[64:65]
	v_fma_f64 v[32:33], v[22:23], s[20:21], v[30:31]
	v_fma_f64 v[30:31], v[22:23], s[20:21], -v[30:31]
	v_add_f64 v[66:67], v[32:33], v[66:67]
	v_mul_f64 v[32:33], v[20:21], s[20:21]
	v_add_f64 v[62:63], v[30:31], v[62:63]
	v_fma_f64 v[30:31], v[106:107], s[30:31], v[32:33]
	v_fma_f64 v[34:35], v[106:107], s[28:29], v[32:33]
	v_add_f64 v[72:73], v[30:31], v[72:73]
	v_mul_f64 v[30:31], v[28:29], s[14:15]
	v_add_f64 v[74:75], v[34:35], v[74:75]
	v_fma_f64 v[32:33], v[22:23], s[6:7], v[30:31]
	v_fma_f64 v[30:31], v[22:23], s[6:7], -v[30:31]
	v_add_f64 v[60:61], v[32:33], v[78:79]
	v_mul_f64 v[32:33], v[20:21], s[6:7]
	v_add_f64 v[56:57], v[30:31], v[76:77]
	v_mul_f64 v[76:77], v[28:29], s[24:25]
	v_mul_f64 v[78:79], v[20:21], s[16:17]
	v_fma_f64 v[34:35], v[106:107], s[26:27], v[32:33]
	v_fma_f64 v[30:31], v[106:107], s[14:15], v[32:33]
	v_mul_f64 v[32:33], v[28:29], s[34:35]
	v_fma_f64 v[28:29], v[22:23], s[16:17], v[76:77]
	v_add_f64 v[54:55], v[34:35], v[82:83]
	v_add_f64 v[58:59], v[30:31], v[80:81]
	v_fma_f64 v[30:31], v[22:23], s[0:1], v[32:33]
	v_fma_f64 v[32:33], v[22:23], s[0:1], -v[32:33]
	v_fma_f64 v[22:23], v[22:23], s[16:17], -v[76:77]
	v_add_f64 v[76:77], v[50:51], v[36:37]
	v_mul_f64 v[34:35], v[20:21], s[0:1]
	v_fma_f64 v[20:21], v[106:107], s[36:37], v[78:79]
	v_add_f64 v[36:37], v[50:51], -v[36:37]
	v_add_f64 v[28:29], v[28:29], v[102:103]
	v_add_f64 v[38:39], v[30:31], v[86:87]
	;; [unrolled: 1-line block ×4, first 2 shown]
	v_fma_f64 v[24:25], v[106:107], s[24:25], v[78:79]
	v_mul_f64 v[78:79], v[76:77], s[16:17]
	v_fma_f64 v[30:31], v[106:107], s[2:3], v[34:35]
	v_fma_f64 v[34:35], v[106:107], s[34:35], v[34:35]
	v_add_f64 v[20:21], v[20:21], v[104:105]
	v_mul_f64 v[50:51], v[36:37], s[24:25]
	v_add_f64 v[106:107], v[44:45], v[40:41]
	v_add_f64 v[104:105], v[48:49], v[46:47]
	;; [unrolled: 1-line block ×4, first 2 shown]
	v_add_f64 v[42:43], v[52:53], -v[42:43]
	v_add_f64 v[30:31], v[30:31], v[100:101]
	v_add_f64 v[34:35], v[34:35], v[89:90]
	v_fma_f64 v[52:53], v[26:27], s[16:17], v[50:51]
	v_fma_f64 v[80:81], v[42:43], s[36:37], v[78:79]
	v_fma_f64 v[50:51], v[26:27], s[16:17], -v[50:51]
	v_fma_f64 v[78:79], v[42:43], s[24:25], v[78:79]
	v_add_f64 v[52:53], v[52:53], v[108:109]
	v_add_f64 v[64:65], v[80:81], v[64:65]
	v_mul_f64 v[80:81], v[36:37], s[18:19]
	v_add_f64 v[50:51], v[50:51], v[110:111]
	v_add_f64 v[110:111], v[44:45], -v[40:41]
	v_add_f64 v[108:109], v[48:49], -v[46:47]
	v_add_f64 v[78:79], v[78:79], v[112:113]
	v_fma_f64 v[82:83], v[26:27], s[12:13], v[80:81]
	v_fma_f64 v[80:81], v[26:27], s[12:13], -v[80:81]
	v_mul_f64 v[40:41], v[110:111], s[24:25]
	v_mul_f64 v[48:49], v[110:111], s[14:15]
	v_add_f64 v[66:67], v[82:83], v[66:67]
	v_mul_f64 v[82:83], v[76:77], s[12:13]
	v_add_f64 v[62:63], v[80:81], v[62:63]
	v_fma_f64 v[44:45], v[104:105], s[6:7], v[48:49]
	v_fma_f64 v[48:49], v[104:105], s[6:7], -v[48:49]
	v_fma_f64 v[80:81], v[42:43], s[18:19], v[82:83]
	v_fma_f64 v[84:85], v[42:43], s[22:23], v[82:83]
	v_add_f64 v[72:73], v[80:81], v[72:73]
	v_mul_f64 v[80:81], v[36:37], s[34:35]
	v_add_f64 v[74:75], v[84:85], v[74:75]
	v_fma_f64 v[82:83], v[26:27], s[0:1], v[80:81]
	v_fma_f64 v[80:81], v[26:27], s[0:1], -v[80:81]
	v_add_f64 v[60:61], v[82:83], v[60:61]
	v_mul_f64 v[82:83], v[76:77], s[0:1]
	v_add_f64 v[56:57], v[80:81], v[56:57]
	v_fma_f64 v[80:81], v[42:43], s[34:35], v[82:83]
	v_fma_f64 v[84:85], v[42:43], s[2:3], v[82:83]
	v_add_f64 v[58:59], v[80:81], v[58:59]
	v_mul_f64 v[80:81], v[36:37], s[28:29]
	v_add_f64 v[54:55], v[84:85], v[54:55]
	v_fma_f64 v[82:83], v[26:27], s[20:21], v[80:81]
	v_add_f64 v[82:83], v[82:83], v[38:39]
	v_mul_f64 v[38:39], v[76:77], s[20:21]
	v_add_f64 v[44:45], v[44:45], v[82:83]
	v_fma_f64 v[84:85], v[42:43], s[30:31], v[38:39]
	v_add_f64 v[84:85], v[84:85], v[30:31]
	v_fma_f64 v[30:31], v[26:27], s[20:21], -v[80:81]
	v_add_f64 v[80:81], v[30:31], v[32:33]
	v_fma_f64 v[30:31], v[42:43], s[28:29], v[38:39]
	v_add_f64 v[48:49], v[48:49], v[80:81]
	v_add_f64 v[86:87], v[30:31], v[34:35]
	v_mul_f64 v[30:31], v[36:37], s[14:15]
	v_fma_f64 v[36:37], v[104:105], s[16:17], v[40:41]
	v_fma_f64 v[40:41], v[104:105], s[16:17], -v[40:41]
	v_mul_f64 v[34:35], v[106:107], s[0:1]
	v_fma_f64 v[32:33], v[26:27], s[6:7], v[30:31]
	v_add_f64 v[36:37], v[36:37], v[60:61]
	v_add_f64 v[40:41], v[40:41], v[56:57]
	v_mul_f64 v[56:57], v[110:111], s[22:23]
	v_add_f64 v[89:90], v[32:33], v[28:29]
	v_mul_f64 v[28:29], v[76:77], s[6:7]
	v_fma_f64 v[32:33], v[42:43], s[26:27], v[28:29]
	v_add_f64 v[76:77], v[32:33], v[20:21]
	v_fma_f64 v[20:21], v[26:27], s[6:7], -v[30:31]
	v_mul_f64 v[26:27], v[106:107], s[20:21]
	v_mul_f64 v[32:33], v[110:111], s[2:3]
	v_fma_f64 v[30:31], v[108:109], s[34:35], v[34:35]
	v_fma_f64 v[34:35], v[108:109], s[2:3], v[34:35]
	v_add_f64 v[100:101], v[20:21], v[22:23]
	v_fma_f64 v[20:21], v[42:43], s[14:15], v[28:29]
	v_mul_f64 v[42:43], v[106:107], s[16:17]
	v_fma_f64 v[22:23], v[108:109], s[30:31], v[26:27]
	v_fma_f64 v[28:29], v[104:105], s[0:1], v[32:33]
	v_fma_f64 v[32:33], v[104:105], s[0:1], -v[32:33]
	v_fma_f64 v[26:27], v[108:109], s[28:29], v[26:27]
	v_add_f64 v[30:31], v[30:31], v[74:75]
	v_add_f64 v[34:35], v[34:35], v[72:73]
	;; [unrolled: 1-line block ×3, first 2 shown]
	v_mul_f64 v[24:25], v[110:111], s[28:29]
	v_fma_f64 v[38:39], v[108:109], s[36:37], v[42:43]
	v_fma_f64 v[42:43], v[108:109], s[24:25], v[42:43]
	v_add_f64 v[22:23], v[22:23], v[64:65]
	v_add_f64 v[28:29], v[28:29], v[66:67]
	;; [unrolled: 1-line block ×4, first 2 shown]
	v_fma_f64 v[20:21], v[104:105], s[20:21], v[24:25]
	v_fma_f64 v[24:25], v[104:105], s[20:21], -v[24:25]
	v_add_f64 v[42:43], v[42:43], v[58:59]
	v_mul_f64 v[58:59], v[106:107], s[12:13]
	v_add_f64 v[38:39], v[38:39], v[54:55]
	v_add_f64 v[20:21], v[20:21], v[52:53]
	;; [unrolled: 1-line block ×3, first 2 shown]
	v_mul_f64 v[50:51], v[106:107], s[6:7]
	v_fma_f64 v[52:53], v[104:105], s[12:13], v[56:57]
	v_fma_f64 v[54:55], v[108:109], s[18:19], v[58:59]
	v_fma_f64 v[56:57], v[104:105], s[12:13], -v[56:57]
	v_fma_f64 v[58:59], v[108:109], s[22:23], v[58:59]
	v_fma_f64 v[46:47], v[108:109], s[26:27], v[50:51]
	;; [unrolled: 1-line block ×3, first 2 shown]
	v_add_f64 v[52:53], v[52:53], v[89:90]
	v_add_f64 v[54:55], v[54:55], v[76:77]
	;; [unrolled: 1-line block ×6, first 2 shown]
	ds_write_b128 v94, v[96:99]
	ds_write_b128 v94, v[20:23] offset:32
	ds_write_b128 v94, v[28:31] offset:64
	;; [unrolled: 1-line block ×10, first 2 shown]
	s_and_saveexec_b32 s33, vcc_lo
	s_cbranch_execz .LBB0_9
; %bb.8:
	s_clause 0xb
	buffer_load_dword v34, off, s[40:43], 0 offset:380
	buffer_load_dword v35, off, s[40:43], 0 offset:384
	;; [unrolled: 1-line block ×12, first 2 shown]
	v_mul_f64 v[30:31], v[70:71], v[194:195]
	s_waitcnt vmcnt(8)
	v_mul_f64 v[20:21], v[36:37], v[18:19]
	s_waitcnt vmcnt(4)
	v_mul_f64 v[22:23], v[40:41], v[190:191]
	v_mul_f64 v[24:25], v[36:37], v[16:17]
	;; [unrolled: 1-line block ×3, first 2 shown]
	s_waitcnt vmcnt(0)
	v_mul_f64 v[28:29], v[46:47], v[14:15]
	v_mul_f64 v[32:33], v[46:47], v[12:13]
	v_fma_f64 v[60:61], v[34:35], v[16:17], v[20:21]
	v_fma_f64 v[16:17], v[38:39], v[188:189], v[22:23]
	v_fma_f64 v[62:63], v[34:35], v[18:19], -v[24:25]
	v_fma_f64 v[18:19], v[38:39], v[190:191], -v[26:27]
	s_clause 0x17
	buffer_load_dword v36, off, s[40:43], 0 offset:300
	buffer_load_dword v37, off, s[40:43], 0 offset:304
	;; [unrolled: 1-line block ×24, first 2 shown]
	v_mul_f64 v[20:21], v[70:71], v[192:193]
	v_fma_f64 v[64:65], v[44:45], v[12:13], v[28:29]
	v_fma_f64 v[12:13], v[68:69], v[192:193], v[30:31]
	v_fma_f64 v[66:67], v[44:45], v[14:15], -v[32:33]
	v_add_f64 v[74:75], v[60:61], -v[16:17]
	v_add_f64 v[58:59], v[60:61], v[16:17]
	v_add_f64 v[56:57], v[62:63], -v[18:19]
	v_add_f64 v[70:71], v[62:63], v[18:19]
	v_add_f64 v[60:61], v[8:9], v[60:61]
	v_fma_f64 v[14:15], v[68:69], v[194:195], -v[20:21]
	v_mul_f64 v[72:73], v[74:75], s[28:29]
	v_mul_f64 v[100:101], v[74:75], s[22:23]
	v_mul_f64 v[76:77], v[56:57], s[28:29]
	v_mul_f64 v[89:90], v[56:57], s[24:25]
	v_mul_f64 v[104:105], v[56:57], s[22:23]
	v_mul_f64 v[108:109], v[74:75], s[26:27]
	v_add_f64 v[124:125], v[60:61], v[64:65]
	v_add_f64 v[44:45], v[66:67], -v[14:15]
	v_fma_f64 v[86:87], v[58:59], s[20:21], -v[76:77]
	v_fma_f64 v[76:77], v[58:59], s[20:21], v[76:77]
	v_fma_f64 v[122:123], v[58:59], s[16:17], -v[89:90]
	v_fma_f64 v[60:61], v[58:59], s[12:13], -v[104:105]
	v_fma_f64 v[104:105], v[58:59], s[12:13], v[104:105]
	v_mul_f64 v[110:111], v[44:45], s[18:19]
	v_mul_f64 v[120:121], v[44:45], s[30:31]
	v_add_f64 v[86:87], v[8:9], v[86:87]
	v_add_f64 v[76:77], v[8:9], v[76:77]
	;; [unrolled: 1-line block ×4, first 2 shown]
	s_waitcnt vmcnt(20)
	v_mul_f64 v[22:23], v[38:39], v[186:187]
	s_waitcnt vmcnt(16)
	v_mul_f64 v[24:25], v[42:43], v[198:199]
	v_mul_f64 v[34:35], v[42:43], v[196:197]
	;; [unrolled: 1-line block ×3, first 2 shown]
	s_waitcnt vmcnt(12)
	v_mul_f64 v[28:29], v[84:85], v[210:211]
	s_waitcnt vmcnt(8)
	v_mul_f64 v[30:31], v[50:51], v[214:215]
	v_mul_f64 v[32:33], v[50:51], v[212:213]
	s_waitcnt vmcnt(4)
	v_mul_f64 v[38:39], v[80:81], v[202:203]
	v_mul_f64 v[50:51], v[80:81], v[200:201]
	v_add_f64 v[42:43], v[64:65], -v[12:13]
	s_waitcnt vmcnt(0)
	v_mul_f64 v[68:69], v[98:99], v[204:205]
	v_fma_f64 v[52:53], v[36:37], v[184:185], v[22:23]
	v_fma_f64 v[20:21], v[40:41], v[196:197], v[24:25]
	v_mul_f64 v[24:25], v[84:85], v[208:209]
	v_fma_f64 v[22:23], v[40:41], v[198:199], -v[34:35]
	v_mul_f64 v[40:41], v[98:99], v[206:207]
	v_fma_f64 v[54:55], v[36:37], v[186:187], -v[26:27]
	v_fma_f64 v[36:37], v[82:83], v[208:209], v[28:29]
	v_fma_f64 v[26:27], v[48:49], v[212:213], v[30:31]
	v_fma_f64 v[32:33], v[48:49], v[214:215], -v[32:33]
	v_fma_f64 v[48:49], v[78:79], v[200:201], v[38:39]
	v_fma_f64 v[50:51], v[78:79], v[202:203], -v[50:51]
	v_add_f64 v[38:39], v[66:67], v[14:15]
	v_add_f64 v[30:31], v[64:65], v[12:13]
	v_mul_f64 v[80:81], v[42:43], s[2:3]
	v_fma_f64 v[84:85], v[70:71], s[20:21], v[72:73]
	v_mul_f64 v[78:79], v[44:45], s[2:3]
	v_fma_f64 v[72:73], v[70:71], s[20:21], -v[72:73]
	v_mul_f64 v[106:107], v[42:43], s[18:19]
	v_mul_f64 v[112:113], v[42:43], s[30:31]
	v_fma_f64 v[64:65], v[70:71], s[12:13], -v[100:101]
	v_add_f64 v[34:35], v[52:53], -v[20:21]
	v_fma_f64 v[46:47], v[82:83], v[210:211], -v[24:25]
	v_mul_f64 v[82:83], v[74:75], s[24:25]
	v_fma_f64 v[24:25], v[96:97], v[204:205], v[40:41]
	v_fma_f64 v[40:41], v[96:97], v[206:207], -v[68:69]
	v_add_f64 v[96:97], v[10:11], v[62:63]
	v_add_f64 v[28:29], v[54:55], -v[22:23]
	v_mul_f64 v[74:75], v[74:75], s[34:35]
	v_add_f64 v[68:69], v[54:55], v[22:23]
	v_add_f64 v[62:63], v[52:53], v[20:21]
	;; [unrolled: 1-line block ×3, first 2 shown]
	v_fma_f64 v[114:115], v[38:39], s[0:1], v[80:81]
	v_add_f64 v[84:85], v[10:11], v[84:85]
	v_fma_f64 v[116:117], v[30:31], s[0:1], -v[78:79]
	v_fma_f64 v[80:81], v[38:39], s[0:1], -v[80:81]
	v_add_f64 v[72:73], v[10:11], v[72:73]
	v_fma_f64 v[78:79], v[30:31], s[0:1], v[78:79]
	v_add_f64 v[64:65], v[10:11], v[64:65]
	v_mul_f64 v[98:99], v[34:35], s[24:25]
	v_fma_f64 v[118:119], v[70:71], s[16:17], v[82:83]
	v_add_f64 v[130:131], v[48:49], -v[24:25]
	v_add_f64 v[96:97], v[96:97], v[66:67]
	v_fma_f64 v[66:67], v[70:71], s[16:17], -v[82:83]
	v_fma_f64 v[82:83], v[58:59], s[16:17], v[89:90]
	v_mul_f64 v[102:103], v[28:29], s[24:25]
	v_fma_f64 v[89:90], v[70:71], s[12:13], v[100:101]
	v_fma_f64 v[100:101], v[70:71], s[6:7], v[108:109]
	v_fma_f64 v[108:109], v[70:71], s[6:7], -v[108:109]
	v_fma_f64 v[126:127], v[70:71], s[0:1], v[74:75]
	v_fma_f64 v[128:129], v[70:71], s[0:1], -v[74:75]
	v_mul_f64 v[70:71], v[34:35], s[34:35]
	v_add_f64 v[74:75], v[114:115], v[84:85]
	v_fma_f64 v[84:85], v[38:39], s[12:13], v[106:107]
	v_add_f64 v[86:87], v[116:117], v[86:87]
	v_fma_f64 v[116:117], v[30:31], s[12:13], -v[110:111]
	v_fma_f64 v[106:107], v[38:39], s[12:13], -v[106:107]
	v_fma_f64 v[110:111], v[30:31], s[12:13], v[110:111]
	v_add_f64 v[72:73], v[80:81], v[72:73]
	v_fma_f64 v[80:81], v[38:39], s[20:21], v[112:113]
	v_add_f64 v[76:77], v[78:79], v[76:77]
	v_add_f64 v[114:115], v[10:11], v[118:119]
	;; [unrolled: 1-line block ×3, first 2 shown]
	v_fma_f64 v[78:79], v[30:31], s[20:21], -v[120:121]
	v_fma_f64 v[112:113], v[38:39], s[20:21], -v[112:113]
	v_add_f64 v[66:67], v[10:11], v[66:67]
	v_add_f64 v[82:83], v[8:9], v[82:83]
	v_mul_f64 v[122:123], v[34:35], s[14:15]
	v_add_f64 v[89:90], v[10:11], v[89:90]
	v_add_f64 v[54:55], v[96:97], v[54:55]
	v_mul_f64 v[96:97], v[42:43], s[24:25]
	v_add_f64 v[100:101], v[10:11], v[100:101]
	v_add_f64 v[108:109], v[10:11], v[108:109]
	;; [unrolled: 1-line block ×3, first 2 shown]
	v_mul_f64 v[42:43], v[42:43], s[26:27]
	v_add_f64 v[84:85], v[84:85], v[114:115]
	v_fma_f64 v[114:115], v[68:69], s[16:17], v[98:99]
	v_add_f64 v[116:117], v[116:117], v[118:119]
	v_fma_f64 v[118:119], v[62:63], s[16:17], -v[102:103]
	v_add_f64 v[66:67], v[106:107], v[66:67]
	v_mul_f64 v[106:107], v[28:29], s[34:35]
	v_fma_f64 v[98:99], v[68:69], s[16:17], -v[98:99]
	v_add_f64 v[110:111], v[110:111], v[82:83]
	v_fma_f64 v[82:83], v[62:63], s[16:17], v[102:103]
	v_fma_f64 v[102:103], v[68:69], s[0:1], v[70:71]
	v_add_f64 v[89:90], v[80:81], v[89:90]
	v_add_f64 v[60:61], v[78:79], v[60:61]
	;; [unrolled: 1-line block ×4, first 2 shown]
	v_fma_f64 v[70:71], v[68:69], s[0:1], -v[70:71]
	v_add_f64 v[64:65], v[114:115], v[74:75]
	v_add_f64 v[114:115], v[50:51], -v[40:41]
	v_add_f64 v[74:75], v[118:119], v[86:87]
	v_mul_f64 v[86:87], v[28:29], s[14:15]
	v_fma_f64 v[78:79], v[62:63], s[0:1], -v[106:107]
	v_add_f64 v[72:73], v[98:99], v[72:73]
	v_fma_f64 v[98:99], v[62:63], s[0:1], v[106:107]
	v_fma_f64 v[106:107], v[68:69], s[6:7], v[122:123]
	v_add_f64 v[84:85], v[102:103], v[84:85]
	v_mul_f64 v[102:103], v[130:131], s[14:15]
	v_add_f64 v[76:77], v[82:83], v[76:77]
	v_add_f64 v[82:83], v[48:49], v[24:25]
	v_mul_f64 v[118:119], v[44:45], s[24:25]
	v_add_f64 v[50:51], v[54:55], v[50:51]
	v_add_f64 v[48:49], v[52:53], v[48:49]
	v_mul_f64 v[52:53], v[28:29], s[30:31]
	v_mul_f64 v[44:45], v[44:45], s[26:27]
	;; [unrolled: 1-line block ×3, first 2 shown]
	v_add_f64 v[78:79], v[78:79], v[116:117]
	v_add_f64 v[116:117], v[70:71], v[66:67]
	v_fma_f64 v[66:67], v[62:63], s[6:7], -v[86:87]
	v_add_f64 v[89:90], v[106:107], v[89:90]
	v_add_f64 v[98:99], v[98:99], v[110:111]
	v_fma_f64 v[106:107], v[80:81], s[6:7], v[102:103]
	v_mul_f64 v[70:71], v[114:115], s[14:15]
	v_fma_f64 v[86:87], v[62:63], s[6:7], v[86:87]
	v_fma_f64 v[54:55], v[30:31], s[16:17], -v[118:119]
	v_add_f64 v[50:51], v[50:51], v[46:47]
	v_add_f64 v[48:49], v[48:49], v[36:37]
	;; [unrolled: 1-line block ×3, first 2 shown]
	v_fma_f64 v[66:67], v[80:81], s[6:7], -v[102:103]
	v_add_f64 v[102:103], v[106:107], v[64:65]
	v_mul_f64 v[106:107], v[130:131], s[28:29]
	v_fma_f64 v[60:61], v[82:83], s[6:7], -v[70:71]
	v_fma_f64 v[70:71], v[82:83], s[6:7], v[70:71]
	v_add_f64 v[66:67], v[66:67], v[72:73]
	v_fma_f64 v[72:73], v[80:81], s[20:21], v[106:107]
	v_add_f64 v[64:65], v[60:61], v[74:75]
	v_mul_f64 v[60:61], v[114:115], s[28:29]
	v_add_f64 v[70:71], v[70:71], v[76:77]
	v_fma_f64 v[76:77], v[80:81], s[20:21], -v[106:107]
	v_mul_f64 v[106:107], v[114:115], s[34:35]
	v_add_f64 v[72:73], v[72:73], v[84:85]
	v_mul_f64 v[84:85], v[130:131], s[34:35]
	v_fma_f64 v[74:75], v[82:83], s[20:21], -v[60:61]
	v_fma_f64 v[60:61], v[82:83], s[20:21], v[60:61]
	v_add_f64 v[76:77], v[76:77], v[116:117]
	v_fma_f64 v[116:117], v[80:81], s[0:1], v[84:85]
	v_add_f64 v[74:75], v[74:75], v[78:79]
	v_add_f64 v[78:79], v[60:61], v[98:99]
	v_fma_f64 v[98:99], v[82:83], s[0:1], -v[106:107]
	v_fma_f64 v[84:85], v[80:81], s[0:1], -v[84:85]
	v_fma_f64 v[106:107], v[82:83], s[0:1], v[106:107]
	v_add_f64 v[60:61], v[116:117], v[89:90]
	v_mul_f64 v[89:90], v[56:57], s[26:27]
	v_mul_f64 v[116:117], v[56:57], s[34:35]
	v_add_f64 v[56:57], v[98:99], v[110:111]
	v_fma_f64 v[98:99], v[58:59], s[6:7], -v[89:90]
	v_fma_f64 v[89:90], v[58:59], s[6:7], v[89:90]
	v_fma_f64 v[110:111], v[58:59], s[0:1], -v[116:117]
	v_fma_f64 v[58:59], v[58:59], s[0:1], v[116:117]
	v_fma_f64 v[116:117], v[30:31], s[20:21], v[120:121]
	v_fma_f64 v[120:121], v[68:69], s[6:7], -v[122:123]
	v_add_f64 v[122:123], v[10:11], v[126:127]
	v_fma_f64 v[10:11], v[38:39], s[16:17], v[96:97]
	v_fma_f64 v[96:97], v[38:39], s[16:17], -v[96:97]
	v_add_f64 v[98:99], v[8:9], v[98:99]
	v_add_f64 v[89:90], v[8:9], v[89:90]
	;; [unrolled: 1-line block ×5, first 2 shown]
	v_add_f64 v[116:117], v[36:37], -v[26:27]
	v_mul_f64 v[58:59], v[34:35], s[30:31]
	v_add_f64 v[112:113], v[120:121], v[112:113]
	v_add_f64 v[10:11], v[10:11], v[100:101]
	;; [unrolled: 1-line block ×3, first 2 shown]
	v_add_f64 v[46:47], v[46:47], -v[32:33]
	v_add_f64 v[36:37], v[36:37], v[26:27]
	v_add_f64 v[96:97], v[96:97], v[108:109]
	v_mul_f64 v[34:35], v[34:35], s[22:23]
	v_fma_f64 v[108:109], v[38:39], s[6:7], v[42:43]
	v_fma_f64 v[38:39], v[38:39], s[6:7], -v[42:43]
	v_add_f64 v[32:33], v[50:51], v[32:33]
	v_add_f64 v[26:27], v[48:49], v[26:27]
	v_fma_f64 v[50:51], v[30:31], s[6:7], v[44:45]
	v_add_f64 v[54:55], v[54:55], v[98:99]
	v_fma_f64 v[98:99], v[62:63], s[20:21], -v[52:53]
	v_fma_f64 v[52:53], v[62:63], s[20:21], v[52:53]
	v_add_f64 v[86:87], v[86:87], v[104:105]
	v_mul_f64 v[120:121], v[116:117], s[22:23]
	v_fma_f64 v[104:105], v[68:69], s[20:21], v[58:59]
	v_fma_f64 v[58:59], v[68:69], s[20:21], -v[58:59]
	v_add_f64 v[84:85], v[84:85], v[112:113]
	v_mul_f64 v[42:43], v[116:117], s[14:15]
	v_mul_f64 v[48:49], v[46:47], s[14:15]
	v_add_f64 v[108:109], v[108:109], v[122:123]
	v_add_f64 v[38:39], v[38:39], v[124:125]
	;; [unrolled: 1-line block ×4, first 2 shown]
	v_mul_f64 v[26:27], v[114:115], s[18:19]
	v_add_f64 v[8:9], v[50:51], v[8:9]
	v_fma_f64 v[40:41], v[62:63], s[12:13], v[28:29]
	v_mul_f64 v[124:125], v[130:131], s[24:25]
	v_fma_f64 v[28:29], v[62:63], s[12:13], -v[28:29]
	v_add_f64 v[54:55], v[98:99], v[54:55]
	v_fma_f64 v[98:99], v[30:31], s[16:17], v[118:119]
	v_fma_f64 v[30:31], v[30:31], s[6:7], -v[44:45]
	v_fma_f64 v[44:45], v[68:69], s[12:13], v[34:35]
	v_fma_f64 v[34:35], v[68:69], s[12:13], -v[34:35]
	v_add_f64 v[104:105], v[104:105], v[10:11]
	v_fma_f64 v[10:11], v[100:101], s[12:13], v[120:121]
	v_mul_f64 v[118:119], v[46:47], s[22:23]
	v_mul_f64 v[62:63], v[46:47], s[24:25]
	v_add_f64 v[58:59], v[58:59], v[96:97]
	v_mul_f64 v[96:97], v[46:47], s[2:3]
	v_mul_f64 v[46:47], v[46:47], s[28:29]
	v_add_f64 v[86:87], v[106:107], v[86:87]
	v_mul_f64 v[114:115], v[114:115], s[24:25]
	v_mul_f64 v[122:123], v[116:117], s[24:25]
	v_add_f64 v[22:23], v[32:33], v[22:23]
	v_add_f64 v[20:21], v[24:25], v[20:21]
	v_fma_f64 v[32:33], v[82:83], s[12:13], v[26:27]
	v_fma_f64 v[26:27], v[82:83], s[12:13], -v[26:27]
	v_add_f64 v[8:9], v[40:41], v[8:9]
	v_fma_f64 v[40:41], v[80:81], s[16:17], -v[124:125]
	v_fma_f64 v[68:69], v[100:101], s[6:7], v[42:43]
	v_fma_f64 v[50:51], v[36:37], s[6:7], -v[48:49]
	v_add_f64 v[89:90], v[98:99], v[89:90]
	v_add_f64 v[30:31], v[30:31], v[110:111]
	v_mul_f64 v[110:111], v[116:117], s[2:3]
	v_add_f64 v[34:35], v[34:35], v[38:39]
	v_add_f64 v[44:45], v[44:45], v[108:109]
	;; [unrolled: 1-line block ×3, first 2 shown]
	v_fma_f64 v[102:103], v[100:101], s[12:13], -v[120:121]
	v_mul_f64 v[120:121], v[130:131], s[18:19]
	v_mul_f64 v[116:117], v[116:117], s[28:29]
	v_fma_f64 v[42:43], v[100:101], s[6:7], -v[42:43]
	v_fma_f64 v[112:113], v[36:37], s[20:21], v[46:47]
	v_fma_f64 v[48:49], v[36:37], s[6:7], v[48:49]
	;; [unrolled: 1-line block ×3, first 2 shown]
	v_fma_f64 v[82:83], v[82:83], s[16:17], -v[114:115]
	v_add_f64 v[114:115], v[22:23], v[14:15]
	v_fma_f64 v[98:99], v[36:37], s[12:13], -v[118:119]
	v_fma_f64 v[118:119], v[36:37], s[12:13], v[118:119]
	v_add_f64 v[54:55], v[26:27], v[54:55]
	v_add_f64 v[22:23], v[68:69], v[72:73]
	;; [unrolled: 1-line block ×4, first 2 shown]
	v_fma_f64 v[106:107], v[100:101], s[0:1], -v[110:111]
	v_fma_f64 v[89:90], v[100:101], s[16:17], v[122:123]
	v_fma_f64 v[30:31], v[100:101], s[16:17], -v[122:123]
	v_add_f64 v[122:123], v[20:21], v[12:13]
	v_add_f64 v[40:41], v[40:41], v[34:35]
	v_fma_f64 v[38:39], v[80:81], s[12:13], -v[120:121]
	v_fma_f64 v[120:121], v[80:81], s[12:13], v[120:121]
	v_fma_f64 v[80:81], v[80:81], s[16:17], v[124:125]
	v_fma_f64 v[108:109], v[100:101], s[20:21], -v[116:117]
	v_fma_f64 v[124:125], v[36:37], s[16:17], -v[62:63]
	v_add_f64 v[126:127], v[24:25], v[8:9]
	v_fma_f64 v[62:63], v[36:37], s[16:17], v[62:63]
	v_add_f64 v[18:19], v[114:115], v[18:19]
	v_add_f64 v[26:27], v[42:43], v[76:77]
	;; [unrolled: 1-line block ×8, first 2 shown]
	v_fma_f64 v[52:53], v[100:101], s[0:1], v[110:111]
	v_fma_f64 v[110:111], v[36:37], s[20:21], -v[46:47]
	v_fma_f64 v[100:101], v[100:101], s[20:21], v[116:117]
	v_add_f64 v[82:83], v[82:83], v[28:29]
	v_add_f64 v[16:17], v[122:123], v[16:17]
	;; [unrolled: 1-line block ×6, first 2 shown]
	buffer_load_dword v44, off, s[40:43], 0 offset:412 ; 4-byte Folded Reload
	v_fma_f64 v[58:59], v[36:37], s[0:1], v[96:97]
	v_fma_f64 v[96:97], v[36:37], s[0:1], -v[96:97]
	v_add_f64 v[36:37], v[112:113], v[126:127]
	v_add_f64 v[28:29], v[62:63], v[86:87]
	;; [unrolled: 1-line block ×6, first 2 shown]
	buffer_load_dword v53, off, s[40:43], 0 offset:264 ; 4-byte Folded Reload
	v_add_f64 v[38:39], v[108:109], v[40:41]
	v_add_f64 v[32:33], v[58:59], v[32:33]
	;; [unrolled: 1-line block ×4, first 2 shown]
	s_waitcnt vmcnt(1)
	v_mul_u32_u24_e32 v52, 22, v44
	v_add_f64 v[44:45], v[96:97], v[54:55]
	s_waitcnt vmcnt(0)
	v_or_b32_e32 v52, v52, v53
	buffer_load_dword v53, off, s[40:43], 0 offset:4 ; 4-byte Folded Reload
	s_waitcnt vmcnt(0)
	v_lshl_add_u32 v52, v52, 4, v53
	ds_write_b128 v52, v[16:19]
	ds_write_b128 v52, v[36:39] offset:32
	ds_write_b128 v52, v[32:35] offset:64
	ds_write_b128 v52, v[28:31] offset:96
	ds_write_b128 v52, v[24:27] offset:128
	ds_write_b128 v52, v[12:15] offset:160
	ds_write_b128 v52, v[8:11] offset:192
	ds_write_b128 v52, v[20:23] offset:224
	ds_write_b128 v52, v[40:43] offset:256
	ds_write_b128 v52, v[44:47] offset:288
	ds_write_b128 v52, v[48:51] offset:320
.LBB0_9:
	s_or_b32 exec_lo, exec_lo, s33
	s_waitcnt lgkmcnt(0)
	s_barrier
	buffer_gl0_inv
	ds_read_b128 v[8:11], v91 offset:2464
	ds_read_b128 v[12:15], v91 offset:4928
	;; [unrolled: 1-line block ×10, first 2 shown]
	ds_read_b128 v[48:51], v91
	ds_read_b128 v[52:55], v91 offset:1232
	ds_read_b128 v[56:59], v91 offset:8624
	;; [unrolled: 1-line block ×3, first 2 shown]
	s_mov_b32 s6, 0x37e14327
	s_mov_b32 s0, 0x36b3c0b5
	;; [unrolled: 1-line block ×9, first 2 shown]
	s_waitcnt lgkmcnt(13)
	v_mul_f64 v[64:65], v[150:151], v[10:11]
	v_mul_f64 v[66:67], v[150:151], v[8:9]
	s_waitcnt lgkmcnt(12)
	v_mul_f64 v[68:69], v[146:147], v[14:15]
	v_mul_f64 v[70:71], v[146:147], v[12:13]
	s_waitcnt lgkmcnt(11)
	v_mul_f64 v[72:73], v[158:159], v[18:19]
	s_waitcnt lgkmcnt(10)
	v_mul_f64 v[74:75], v[154:155], v[22:23]
	v_mul_f64 v[76:77], v[154:155], v[20:21]
	;; [unrolled: 1-line block ×3, first 2 shown]
	s_waitcnt lgkmcnt(9)
	v_mul_f64 v[80:81], v[142:143], v[26:27]
	v_mul_f64 v[82:83], v[142:143], v[24:25]
	s_waitcnt lgkmcnt(8)
	v_mul_f64 v[84:85], v[138:139], v[30:31]
	v_mul_f64 v[86:87], v[138:139], v[28:29]
	;; [unrolled: 3-line block ×3, first 2 shown]
	s_waitcnt lgkmcnt(0)
	v_mul_f64 v[100:101], v[162:163], v[60:61]
	s_mov_b32 s20, 0xb247c609
	s_mov_b32 s17, 0x3fe77f67
	;; [unrolled: 1-line block ×7, first 2 shown]
	v_fma_f64 v[8:9], v[148:149], v[8:9], v[64:65]
	v_fma_f64 v[10:11], v[148:149], v[10:11], -v[66:67]
	v_fma_f64 v[12:13], v[144:145], v[12:13], v[68:69]
	v_fma_f64 v[14:15], v[144:145], v[14:15], -v[70:71]
	v_fma_f64 v[16:17], v[156:157], v[16:17], v[72:73]
	v_fma_f64 v[20:21], v[152:153], v[20:21], v[74:75]
	v_fma_f64 v[22:23], v[152:153], v[22:23], -v[76:77]
	v_fma_f64 v[18:19], v[156:157], v[18:19], -v[78:79]
	v_mul_f64 v[64:65], v[174:175], v[34:35]
	v_mul_f64 v[66:67], v[174:175], v[32:33]
	;; [unrolled: 1-line block ×8, first 2 shown]
	v_fma_f64 v[24:25], v[140:141], v[24:25], v[80:81]
	v_fma_f64 v[26:27], v[140:141], v[26:27], -v[82:83]
	v_fma_f64 v[28:29], v[136:137], v[28:29], v[84:85]
	v_fma_f64 v[30:31], v[136:137], v[30:31], -v[86:87]
	v_mul_f64 v[80:81], v[162:163], v[62:63]
	v_fma_f64 v[40:41], v[180:181], v[40:41], v[89:90]
	v_fma_f64 v[42:43], v[180:181], v[42:43], -v[96:97]
	v_fma_f64 v[62:63], v[160:161], v[62:63], -v[100:101]
	s_mov_b32 s23, 0x3fd5d0dc
	s_mov_b32 s22, s20
	v_add_f64 v[86:87], v[12:13], v[16:17]
	v_add_f64 v[82:83], v[8:9], v[20:21]
	;; [unrolled: 1-line block ×4, first 2 shown]
	v_fma_f64 v[32:33], v[172:173], v[32:33], v[64:65]
	v_fma_f64 v[34:35], v[172:173], v[34:35], -v[66:67]
	v_fma_f64 v[36:37], v[168:169], v[36:37], v[68:69]
	v_fma_f64 v[38:39], v[168:169], v[38:39], -v[70:71]
	;; [unrolled: 2-line block ×4, first 2 shown]
	v_add_f64 v[12:13], v[12:13], -v[16:17]
	v_add_f64 v[14:15], v[14:15], -v[18:19]
	v_add_f64 v[64:65], v[24:25], v[28:29]
	v_add_f64 v[66:67], v[26:27], v[30:31]
	v_fma_f64 v[60:61], v[160:161], v[60:61], v[80:81]
	v_add_f64 v[16:17], v[28:29], -v[24:25]
	v_add_f64 v[18:19], v[30:31], -v[26:27]
	;; [unrolled: 1-line block ×4, first 2 shown]
	s_mov_b32 s24, 0x37c3f68c
	s_mov_b32 s25, 0xbfdc38aa
	v_add_f64 v[68:69], v[86:87], v[82:83]
	v_add_f64 v[70:71], v[98:99], v[84:85]
	s_barrier
	buffer_gl0_inv
	v_add_f64 v[24:25], v[32:33], v[44:45]
	v_add_f64 v[26:27], v[34:35], v[46:47]
	v_add_f64 v[28:29], v[32:33], -v[44:45]
	v_add_f64 v[30:31], v[34:35], -v[46:47]
	v_add_f64 v[32:33], v[36:37], v[40:41]
	v_add_f64 v[34:35], v[38:39], v[42:43]
	v_add_f64 v[36:37], v[36:37], -v[40:41]
	v_add_f64 v[38:39], v[38:39], -v[42:43]
	;; [unrolled: 1-line block ×6, first 2 shown]
	v_add_f64 v[44:45], v[56:57], v[60:61]
	v_add_f64 v[56:57], v[60:61], -v[56:57]
	v_add_f64 v[60:61], v[16:17], -v[12:13]
	v_add_f64 v[46:47], v[64:65], v[68:69]
	v_add_f64 v[72:73], v[16:17], v[12:13]
	;; [unrolled: 1-line block ×4, first 2 shown]
	v_add_f64 v[58:59], v[62:63], -v[58:59]
	v_add_f64 v[62:63], v[18:19], -v[14:15]
	v_add_f64 v[74:75], v[18:19], v[14:15]
	v_add_f64 v[12:13], v[12:13], -v[20:21]
	v_add_f64 v[80:81], v[14:15], -v[22:23]
	v_add_f64 v[68:69], v[86:87], -v[82:83]
	v_add_f64 v[70:71], v[98:99], -v[84:85]
	v_add_f64 v[76:77], v[32:33], v[24:25]
	v_add_f64 v[78:79], v[34:35], v[26:27]
	v_add_f64 v[16:17], v[20:21], -v[16:17]
	v_add_f64 v[102:103], v[36:37], -v[28:29]
	v_mul_f64 v[14:15], v[8:9], s[6:7]
	v_mul_f64 v[82:83], v[10:11], s[6:7]
	;; [unrolled: 1-line block ×4, first 2 shown]
	v_add_f64 v[89:90], v[24:25], -v[44:45]
	v_add_f64 v[98:99], v[56:57], -v[36:37]
	v_mul_f64 v[60:61], v[60:61], s[12:13]
	v_add_f64 v[8:9], v[48:49], v[46:47]
	v_add_f64 v[104:105], v[38:39], -v[30:31]
	v_add_f64 v[10:11], v[50:51], v[64:65]
	v_add_f64 v[48:49], v[26:27], -v[66:67]
	v_add_f64 v[50:51], v[44:45], -v[32:33]
	v_add_f64 v[96:97], v[66:67], -v[34:35]
	v_add_f64 v[100:101], v[58:59], -v[38:39]
	v_add_f64 v[18:19], v[22:23], -v[18:19]
	v_mul_f64 v[62:63], v[62:63], s[12:13]
	v_add_f64 v[20:21], v[72:73], v[20:21]
	v_add_f64 v[22:23], v[74:75], v[22:23]
	v_add_f64 v[44:45], v[44:45], v[76:77]
	v_add_f64 v[66:67], v[66:67], v[78:79]
	v_mul_f64 v[72:73], v[12:13], s[2:3]
	v_mul_f64 v[74:75], v[80:81], s[2:3]
	v_fma_f64 v[40:41], v[40:41], s[0:1], v[14:15]
	v_fma_f64 v[42:43], v[42:43], s[0:1], v[82:83]
	v_fma_f64 v[76:77], v[68:69], s[16:17], -v[84:85]
	v_fma_f64 v[78:79], v[70:71], s[16:17], -v[86:87]
	v_fma_f64 v[68:69], v[68:69], s[18:19], -v[14:15]
	v_fma_f64 v[70:71], v[70:71], s[18:19], -v[82:83]
	v_fma_f64 v[82:83], v[16:17], s[20:21], v[60:61]
	v_fma_f64 v[60:61], v[12:13], s[2:3], -v[60:61]
	v_add_f64 v[24:25], v[32:33], -v[24:25]
	v_add_f64 v[26:27], v[34:35], -v[26:27]
	v_add_f64 v[32:33], v[56:57], v[36:37]
	v_add_f64 v[34:35], v[58:59], v[38:39]
	v_mul_f64 v[36:37], v[89:90], s[6:7]
	v_mul_f64 v[38:39], v[48:49], s[6:7]
	;; [unrolled: 1-line block ×6, first 2 shown]
	v_add_f64 v[12:13], v[52:53], v[44:45]
	v_add_f64 v[14:15], v[54:55], v[66:67]
	v_mul_f64 v[52:53], v[96:97], s[0:1]
	v_add_f64 v[54:55], v[28:29], -v[56:57]
	v_add_f64 v[56:57], v[30:31], -v[58:59]
	v_mul_f64 v[58:59], v[100:101], s[12:13]
	v_fma_f64 v[46:47], v[46:47], s[14:15], v[8:9]
	v_fma_f64 v[64:65], v[64:65], s[14:15], v[10:11]
	;; [unrolled: 1-line block ×3, first 2 shown]
	v_fma_f64 v[16:17], v[16:17], s[22:23], -v[72:73]
	v_fma_f64 v[18:19], v[18:19], s[22:23], -v[74:75]
	;; [unrolled: 1-line block ×3, first 2 shown]
	v_fma_f64 v[60:61], v[20:21], s[24:25], v[60:61]
	v_add_f64 v[28:29], v[32:33], v[28:29]
	v_add_f64 v[30:31], v[34:35], v[30:31]
	v_fma_f64 v[48:49], v[24:25], s[16:17], -v[48:49]
	v_fma_f64 v[24:25], v[24:25], s[18:19], -v[36:37]
	v_fma_f64 v[32:33], v[44:45], s[14:15], v[12:13]
	v_fma_f64 v[34:35], v[66:67], s[14:15], v[14:15]
	;; [unrolled: 1-line block ×4, first 2 shown]
	v_fma_f64 v[52:53], v[26:27], s[16:17], -v[52:53]
	v_fma_f64 v[26:27], v[26:27], s[18:19], -v[38:39]
	v_fma_f64 v[36:37], v[56:57], s[20:21], v[58:59]
	v_fma_f64 v[38:39], v[54:55], s[20:21], v[86:87]
	v_fma_f64 v[56:57], v[56:57], s[22:23], -v[89:90]
	v_fma_f64 v[54:55], v[54:55], s[22:23], -v[98:99]
	;; [unrolled: 1-line block ×4, first 2 shown]
	v_add_f64 v[40:41], v[40:41], v[46:47]
	v_add_f64 v[42:43], v[42:43], v[64:65]
	;; [unrolled: 1-line block ×6, first 2 shown]
	v_fma_f64 v[68:69], v[22:23], s[24:25], v[84:85]
	v_fma_f64 v[70:71], v[20:21], s[24:25], v[82:83]
	;; [unrolled: 1-line block ×5, first 2 shown]
	v_add_f64 v[89:90], v[24:25], v[32:33]
	v_add_f64 v[80:81], v[44:45], v[32:33]
	;; [unrolled: 1-line block ×5, first 2 shown]
	v_fma_f64 v[98:99], v[30:31], s[24:25], v[36:37]
	v_fma_f64 v[100:101], v[28:29], s[24:25], v[38:39]
	v_fma_f64 v[56:57], v[30:31], s[24:25], v[56:57]
	v_fma_f64 v[102:103], v[28:29], s[24:25], v[54:55]
	v_add_f64 v[86:87], v[52:53], v[34:35]
	v_fma_f64 v[52:53], v[30:31], s[24:25], v[58:59]
	v_fma_f64 v[54:55], v[28:29], s[24:25], v[66:67]
	v_add_f64 v[26:27], v[60:61], v[74:75]
	v_add_f64 v[30:31], v[74:75], -v[60:61]
	v_add_f64 v[16:17], v[68:69], v[40:41]
	v_add_f64 v[18:19], v[42:43], -v[70:71]
	;; [unrolled: 2-line block ×3, first 2 shown]
	v_add_f64 v[24:25], v[72:73], -v[62:63]
	v_add_f64 v[28:29], v[62:63], v[72:73]
	v_add_f64 v[32:33], v[46:47], -v[76:77]
	v_add_f64 v[34:35], v[78:79], v[64:65]
	;; [unrolled: 2-line block ×3, first 2 shown]
	v_add_f64 v[40:41], v[98:99], v[80:81]
	v_add_f64 v[42:43], v[82:83], -v[100:101]
	v_add_f64 v[44:45], v[56:57], v[89:90]
	v_add_f64 v[46:47], v[96:97], -v[102:103]
	v_add_f64 v[56:57], v[89:90], -v[56:57]
	;; [unrolled: 1-line block ×3, first 2 shown]
	v_add_f64 v[50:51], v[54:55], v[86:87]
	v_add_f64 v[52:53], v[52:53], v[84:85]
	v_add_f64 v[54:55], v[86:87], -v[54:55]
	v_add_f64 v[58:59], v[102:103], v[96:97]
	v_add_f64 v[60:61], v[80:81], -v[98:99]
	v_add_f64 v[62:63], v[100:101], v[82:83]
	ds_write_b128 v93, v[8:11]
	ds_write_b128 v93, v[16:19] offset:352
	ds_write_b128 v93, v[20:23] offset:704
	;; [unrolled: 1-line block ×6, first 2 shown]
	ds_write_b128 v92, v[12:15]
	ds_write_b128 v92, v[40:43] offset:352
	ds_write_b128 v92, v[44:47] offset:704
	;; [unrolled: 1-line block ×6, first 2 shown]
	s_waitcnt lgkmcnt(0)
	s_barrier
	buffer_gl0_inv
	ds_read_b128 v[8:11], v91 offset:2464
	ds_read_b128 v[12:15], v91 offset:4928
	;; [unrolled: 1-line block ×12, first 2 shown]
	s_waitcnt lgkmcnt(11)
	v_mul_f64 v[56:57], v[226:227], v[10:11]
	v_mul_f64 v[58:59], v[226:227], v[8:9]
	s_waitcnt lgkmcnt(10)
	v_mul_f64 v[60:61], v[230:231], v[14:15]
	v_mul_f64 v[62:63], v[230:231], v[12:13]
	;; [unrolled: 3-line block ×6, first 2 shown]
	v_fma_f64 v[8:9], v[224:225], v[8:9], v[56:57]
	v_fma_f64 v[10:11], v[224:225], v[10:11], -v[58:59]
	v_fma_f64 v[12:13], v[228:229], v[12:13], v[60:61]
	v_fma_f64 v[14:15], v[228:229], v[14:15], -v[62:63]
	;; [unrolled: 2-line block ×4, first 2 shown]
	s_waitcnt lgkmcnt(5)
	v_mul_f64 v[56:57], v[254:255], v[34:35]
	v_mul_f64 v[58:59], v[254:255], v[32:33]
	s_waitcnt lgkmcnt(4)
	v_mul_f64 v[60:61], v[250:251], v[38:39]
	v_mul_f64 v[62:63], v[250:251], v[36:37]
	s_waitcnt lgkmcnt(2)
	v_mul_f64 v[64:65], v[6:7], v[46:47]
	v_mul_f64 v[6:7], v[6:7], v[44:45]
	v_mul_f64 v[66:67], v[2:3], v[42:43]
	v_mul_f64 v[2:3], v[2:3], v[40:41]
	v_fma_f64 v[24:25], v[220:221], v[24:25], v[72:73]
	v_fma_f64 v[26:27], v[220:221], v[26:27], -v[74:75]
	v_fma_f64 v[28:29], v[216:217], v[28:29], v[76:77]
	v_fma_f64 v[30:31], v[216:217], v[30:31], -v[78:79]
	s_waitcnt lgkmcnt(1)
	v_mul_f64 v[76:77], v[246:247], v[50:51]
	v_mul_f64 v[78:79], v[246:247], v[48:49]
	v_add_f64 v[68:69], v[8:9], v[16:17]
	v_add_f64 v[70:71], v[10:11], v[18:19]
	;; [unrolled: 1-line block ×4, first 2 shown]
	v_fma_f64 v[32:33], v[252:253], v[32:33], v[56:57]
	v_fma_f64 v[34:35], v[252:253], v[34:35], -v[58:59]
	s_waitcnt lgkmcnt(0)
	v_mul_f64 v[56:57], v[242:243], v[54:55]
	v_mul_f64 v[58:59], v[242:243], v[52:53]
	v_fma_f64 v[36:37], v[248:249], v[36:37], v[60:61]
	v_fma_f64 v[38:39], v[248:249], v[38:39], -v[62:63]
	v_fma_f64 v[44:45], v[4:5], v[44:45], v[64:65]
	v_fma_f64 v[46:47], v[4:5], v[46:47], -v[6:7]
	;; [unrolled: 2-line block ×3, first 2 shown]
	v_add_f64 v[60:61], v[24:25], v[28:29]
	v_add_f64 v[62:63], v[26:27], v[30:31]
	v_add_f64 v[12:13], v[12:13], -v[20:21]
	v_add_f64 v[14:15], v[14:15], -v[22:23]
	;; [unrolled: 1-line block ×4, first 2 shown]
	v_fma_f64 v[48:49], v[244:245], v[48:49], v[76:77]
	v_fma_f64 v[50:51], v[244:245], v[50:51], -v[78:79]
	v_add_f64 v[8:9], v[8:9], -v[16:17]
	v_add_f64 v[10:11], v[10:11], -v[18:19]
	v_add_f64 v[0:1], v[72:73], v[68:69]
	v_add_f64 v[2:3], v[74:75], v[70:71]
	v_fma_f64 v[24:25], v[240:241], v[52:53], v[56:57]
	v_fma_f64 v[26:27], v[240:241], v[54:55], -v[58:59]
	v_add_f64 v[56:57], v[72:73], -v[68:69]
	v_add_f64 v[58:59], v[74:75], -v[70:71]
	v_add_f64 v[16:17], v[32:33], v[44:45]
	v_add_f64 v[18:19], v[34:35], v[46:47]
	v_add_f64 v[28:29], v[36:37], v[40:41]
	v_add_f64 v[30:31], v[38:39], v[42:43]
	v_add_f64 v[64:65], v[68:69], -v[60:61]
	v_add_f64 v[66:67], v[70:71], -v[62:63]
	;; [unrolled: 1-line block ×4, first 2 shown]
	v_add_f64 v[68:69], v[20:21], v[12:13]
	v_add_f64 v[70:71], v[22:23], v[14:15]
	v_add_f64 v[34:35], v[34:35], -v[46:47]
	v_add_f64 v[32:33], v[32:33], -v[44:45]
	v_add_f64 v[52:53], v[60:61], v[0:1]
	v_add_f64 v[54:55], v[62:63], v[2:3]
	v_add_f64 v[60:61], v[60:61], -v[72:73]
	v_add_f64 v[62:63], v[62:63], -v[74:75]
	;; [unrolled: 1-line block ×6, first 2 shown]
	v_add_f64 v[76:77], v[48:49], v[24:25]
	v_add_f64 v[78:79], v[50:51], v[26:27]
	v_add_f64 v[80:81], v[28:29], v[16:17]
	v_add_f64 v[82:83], v[30:31], v[18:19]
	ds_read_b128 v[0:3], v91
	ds_read_b128 v[4:7], v91 offset:1232
	v_add_f64 v[20:21], v[8:9], -v[20:21]
	v_add_f64 v[22:23], v[10:11], -v[22:23]
	;; [unrolled: 1-line block ×4, first 2 shown]
	v_mul_f64 v[40:41], v[64:65], s[6:7]
	v_mul_f64 v[42:43], v[66:67], s[6:7]
	v_add_f64 v[8:9], v[68:69], v[8:9]
	v_add_f64 v[10:11], v[70:71], v[10:11]
	v_add_f64 v[84:85], v[38:39], -v[34:35]
	v_add_f64 v[86:87], v[36:37], -v[32:33]
	v_mul_f64 v[44:45], v[60:61], s[0:1]
	v_mul_f64 v[46:47], v[62:63], s[0:1]
	;; [unrolled: 1-line block ×6, first 2 shown]
	v_add_f64 v[72:73], v[16:17], -v[76:77]
	s_waitcnt lgkmcnt(1)
	v_add_f64 v[0:1], v[0:1], v[52:53]
	v_add_f64 v[2:3], v[2:3], v[54:55]
	;; [unrolled: 1-line block ×4, first 2 shown]
	v_add_f64 v[74:75], v[18:19], -v[78:79]
	v_add_f64 v[76:77], v[76:77], -v[28:29]
	;; [unrolled: 1-line block ×4, first 2 shown]
	v_fma_f64 v[60:61], v[60:61], s[0:1], v[40:41]
	v_fma_f64 v[62:63], v[62:63], s[0:1], v[42:43]
	v_fma_f64 v[40:41], v[56:57], s[18:19], -v[40:41]
	v_fma_f64 v[42:43], v[58:59], s[18:19], -v[42:43]
	v_add_f64 v[18:19], v[30:31], -v[18:19]
	v_add_f64 v[28:29], v[24:25], v[36:37]
	v_add_f64 v[30:31], v[26:27], v[38:39]
	v_fma_f64 v[44:45], v[56:57], s[16:17], -v[44:45]
	v_fma_f64 v[46:47], v[58:59], s[16:17], -v[46:47]
	v_fma_f64 v[89:90], v[20:21], s[20:21], v[48:49]
	v_fma_f64 v[92:93], v[22:23], s[20:21], v[50:51]
	v_fma_f64 v[20:21], v[20:21], s[22:23], -v[64:65]
	v_fma_f64 v[22:23], v[22:23], s[22:23], -v[66:67]
	v_add_f64 v[80:81], v[26:27], -v[38:39]
	v_fma_f64 v[52:53], v[52:53], s[14:15], v[0:1]
	v_fma_f64 v[54:55], v[54:55], s[14:15], v[2:3]
	s_waitcnt lgkmcnt(0)
	v_add_f64 v[4:5], v[4:5], v[68:69]
	v_add_f64 v[6:7], v[6:7], v[70:71]
	v_add_f64 v[82:83], v[24:25], -v[36:37]
	v_mul_f64 v[36:37], v[72:73], s[6:7]
	v_mul_f64 v[38:39], v[74:75], s[6:7]
	;; [unrolled: 1-line block ×4, first 2 shown]
	v_fma_f64 v[12:13], v[12:13], s[2:3], -v[48:49]
	v_fma_f64 v[14:15], v[14:15], s[2:3], -v[50:51]
	v_add_f64 v[24:25], v[32:33], -v[24:25]
	v_add_f64 v[26:27], v[34:35], -v[26:27]
	v_add_f64 v[28:29], v[28:29], v[32:33]
	v_add_f64 v[30:31], v[30:31], v[34:35]
	v_mul_f64 v[72:73], v[80:81], s[12:13]
	v_add_f64 v[48:49], v[60:61], v[52:53]
	v_add_f64 v[50:51], v[62:63], v[54:55]
	;; [unrolled: 1-line block ×6, first 2 shown]
	v_fma_f64 v[52:53], v[10:11], s[24:25], v[92:93]
	v_fma_f64 v[54:55], v[8:9], s[24:25], v[89:90]
	;; [unrolled: 1-line block ×6, first 2 shown]
	v_mul_f64 v[74:75], v[82:83], s[12:13]
	v_fma_f64 v[56:57], v[16:17], s[16:17], -v[56:57]
	v_fma_f64 v[58:59], v[18:19], s[16:17], -v[58:59]
	;; [unrolled: 1-line block ×4, first 2 shown]
	v_fma_f64 v[20:21], v[10:11], s[24:25], v[14:15]
	v_fma_f64 v[22:23], v[8:9], s[24:25], v[12:13]
	;; [unrolled: 1-line block ×5, first 2 shown]
	v_fma_f64 v[64:65], v[84:85], s[2:3], -v[72:73]
	v_mul_f64 v[80:81], v[84:85], s[2:3]
	v_mul_f64 v[82:83], v[86:87], s[2:3]
	s_mov_b32 s0, 0xdbe74d6b
	s_mov_b32 s1, 0x3f4e65a3
	v_add_f64 v[8:9], v[52:53], v[48:49]
	v_add_f64 v[10:11], v[50:51], -v[54:55]
	v_add_f64 v[12:13], v[68:69], v[40:41]
	v_add_f64 v[14:15], v[42:43], -v[70:71]
	v_fma_f64 v[38:39], v[24:25], s[20:21], v[74:75]
	v_fma_f64 v[66:67], v[86:87], s[2:3], -v[74:75]
	v_add_f64 v[56:57], v[56:57], v[32:33]
	v_add_f64 v[72:73], v[16:17], v[32:33]
	;; [unrolled: 1-line block ×3, first 2 shown]
	v_add_f64 v[16:17], v[44:45], -v[20:21]
	v_add_f64 v[18:19], v[22:23], v[46:47]
	ds_write_b128 v91, v[0:3]
	ds_write_b128 v91, v[8:11] offset:2464
	ds_write_b128 v91, v[12:15] offset:4928
	;; [unrolled: 1-line block ×3, first 2 shown]
	buffer_load_dword v0, off, s[40:43], 0 offset:260 ; 4-byte Folded Reload
	v_fma_f64 v[26:27], v[26:27], s[22:23], -v[80:81]
	v_fma_f64 v[24:25], v[24:25], s[22:23], -v[82:83]
	v_add_f64 v[60:61], v[60:61], v[32:33]
	v_add_f64 v[62:63], v[62:63], v[34:35]
	v_fma_f64 v[76:77], v[30:31], s[24:25], v[36:37]
	v_fma_f64 v[78:79], v[28:29], s[24:25], v[38:39]
	v_add_f64 v[58:59], v[58:59], v[34:35]
	v_fma_f64 v[64:65], v[30:31], s[24:25], v[64:65]
	v_fma_f64 v[66:67], v[28:29], s[24:25], v[66:67]
	v_add_f64 v[20:21], v[20:21], v[44:45]
	v_add_f64 v[22:23], v[46:47], -v[22:23]
	s_mul_i32 s2, s9, 0x21b0
	s_mul_hi_u32 s3, s8, 0x21b0
	s_add_i32 s3, s3, s2
	s_mul_i32 s2, s8, 0x21b0
	v_fma_f64 v[80:81], v[30:31], s[24:25], v[26:27]
	v_fma_f64 v[82:83], v[28:29], s[24:25], v[24:25]
	v_add_f64 v[24:25], v[40:41], -v[68:69]
	v_add_f64 v[26:27], v[70:71], v[42:43]
	v_add_f64 v[28:29], v[48:49], -v[52:53]
	v_add_f64 v[30:31], v[54:55], v[50:51]
	v_add_f64 v[32:33], v[76:77], v[60:61]
	v_add_f64 v[34:35], v[62:63], -v[78:79]
	v_add_f64 v[40:41], v[56:57], -v[64:65]
	v_add_f64 v[42:43], v[66:67], v[58:59]
	v_add_f64 v[44:45], v[64:65], v[56:57]
	v_add_f64 v[46:47], v[58:59], -v[66:67]
	v_add_f64 v[52:53], v[60:61], -v[76:77]
	v_add_f64 v[54:55], v[78:79], v[62:63]
	v_add_f64 v[36:37], v[80:81], v[72:73]
	v_add_f64 v[38:39], v[74:75], -v[82:83]
	v_add_f64 v[48:49], v[72:73], -v[80:81]
	v_add_f64 v[50:51], v[82:83], v[74:75]
	s_waitcnt vmcnt(0)
	ds_write_b128 v0, v[20:23] offset:9856
	ds_write_b128 v0, v[24:27] offset:12320
	;; [unrolled: 1-line block ×10, first 2 shown]
	s_waitcnt lgkmcnt(0)
	s_barrier
	buffer_gl0_inv
	ds_read_b128 v[0:3], v91
	ds_read_b128 v[4:7], v91 offset:1232
	s_clause 0x3
	buffer_load_dword v32, off, s[40:43], 0 offset:8
	buffer_load_dword v33, off, s[40:43], 0 offset:12
	;; [unrolled: 1-line block ×4, first 2 shown]
	ds_read_b128 v[8:11], v91 offset:8624
	ds_read_b128 v[12:15], v91 offset:9856
	v_mad_u64_u32 v[26:27], null, s10, v88, 0
	v_mov_b32_e32 v22, v27
	s_waitcnt vmcnt(0) lgkmcnt(3)
	v_mul_f64 v[16:17], v[34:35], v[2:3]
	v_mul_f64 v[20:21], v[34:35], v[0:1]
	v_fma_f64 v[24:25], v[32:33], v[0:1], v[16:17]
	ds_read_b128 v[16:19], v91 offset:7392
	s_clause 0x8
	buffer_load_dword v52, off, s[40:43], 0 offset:216
	buffer_load_dword v53, off, s[40:43], 0 offset:220
	;; [unrolled: 1-line block ×4, first 2 shown]
	buffer_load_dword v23, off, s[40:43], 0
	buffer_load_dword v46, off, s[40:43], 0 offset:24
	buffer_load_dword v47, off, s[40:43], 0 offset:28
	;; [unrolled: 1-line block ×4, first 2 shown]
	v_fma_f64 v[32:33], v[32:33], v[2:3], -v[20:21]
	ds_read_b128 v[0:3], v91 offset:11088
	v_mul_f64 v[24:25], v[24:25], s[0:1]
	s_waitcnt vmcnt(5) lgkmcnt(3)
	v_mul_f64 v[28:29], v[54:55], v[10:11]
	s_waitcnt vmcnt(4)
	v_mad_u64_u32 v[30:31], null, s8, v23, 0
	s_waitcnt vmcnt(0)
	v_mul_f64 v[36:37], v[48:49], v[6:7]
	v_mul_f64 v[38:39], v[48:49], v[4:5]
	s_clause 0x3
	buffer_load_dword v48, off, s[40:43], 0 offset:184
	buffer_load_dword v49, off, s[40:43], 0 offset:188
	;; [unrolled: 1-line block ×4, first 2 shown]
	v_mul_f64 v[34:35], v[54:55], v[8:9]
	v_mad_u64_u32 v[20:21], null, s11, v88, v[22:23]
	v_mov_b32_e32 v21, v31
	v_mad_u64_u32 v[44:45], null, s9, v23, v[21:22]
	v_mov_b32_e32 v27, v20
	ds_read_b128 v[20:23], v91 offset:2464
	v_fma_f64 v[8:9], v[52:53], v[8:9], v[28:29]
	v_lshlrev_b64 v[28:29], 4, v[26:27]
	v_mov_b32_e32 v31, v44
	v_mul_f64 v[26:27], v[32:33], s[0:1]
	v_fma_f64 v[32:33], v[46:47], v[6:7], -v[38:39]
	v_fma_f64 v[10:11], v[52:53], v[10:11], -v[34:35]
	v_add_co_u32 v44, vcc_lo, s4, v28
	v_add_co_ci_u32_e32 v45, vcc_lo, s5, v29, vcc_lo
	v_lshlrev_b64 v[28:29], 4, v[30:31]
	v_fma_f64 v[30:31], v[46:47], v[4:5], v[36:37]
	ds_read_b128 v[4:7], v91 offset:3696
	s_clause 0x3
	buffer_load_dword v54, off, s[40:43], 0 offset:136
	buffer_load_dword v55, off, s[40:43], 0 offset:140
	;; [unrolled: 1-line block ×4, first 2 shown]
	s_mul_hi_u32 s4, s8, 0xffffe320
	s_mul_i32 s5, s9, 0xffffe320
	s_sub_i32 s4, s4, s8
	s_add_i32 s4, s4, s5
	s_mul_i32 s5, s8, 0xffffe320
	v_mul_f64 v[8:9], v[8:9], s[0:1]
	v_mul_f64 v[10:11], v[10:11], s[0:1]
	s_waitcnt vmcnt(4) lgkmcnt(4)
	v_mul_f64 v[40:41], v[50:51], v[14:15]
	v_mul_f64 v[42:43], v[50:51], v[12:13]
	s_clause 0x3
	buffer_load_dword v50, off, s[40:43], 0 offset:120
	buffer_load_dword v51, off, s[40:43], 0 offset:124
	;; [unrolled: 1-line block ×4, first 2 shown]
	v_fma_f64 v[34:35], v[48:49], v[12:13], v[40:41]
	v_add_co_u32 v40, vcc_lo, v44, v28
	v_fma_f64 v[36:37], v[48:49], v[14:15], -v[42:43]
	v_add_co_ci_u32_e32 v41, vcc_lo, v45, v29, vcc_lo
	v_mul_f64 v[12:13], v[30:31], s[0:1]
	v_mul_f64 v[14:15], v[32:33], s[0:1]
	v_add_co_u32 v48, vcc_lo, v40, s2
	s_waitcnt vmcnt(4) lgkmcnt(1)
	v_mul_f64 v[38:39], v[56:57], v[22:23]
	v_mul_f64 v[42:43], v[56:57], v[20:21]
	v_add_co_ci_u32_e32 v49, vcc_lo, s3, v41, vcc_lo
	v_mul_f64 v[28:29], v[34:35], s[0:1]
	v_mul_f64 v[30:31], v[36:37], s[0:1]
	v_add_co_u32 v36, vcc_lo, v48, s5
	v_add_co_ci_u32_e32 v37, vcc_lo, s4, v49, vcc_lo
	v_fma_f64 v[32:33], v[54:55], v[20:21], v[38:39]
	v_fma_f64 v[34:35], v[54:55], v[22:23], -v[42:43]
	ds_read_b128 v[20:23], v91 offset:12320
	s_waitcnt vmcnt(0)
	v_mul_f64 v[44:45], v[52:53], v[2:3]
	v_mul_f64 v[46:47], v[52:53], v[0:1]
	s_clause 0x3
	buffer_load_dword v52, off, s[40:43], 0 offset:104
	buffer_load_dword v53, off, s[40:43], 0 offset:108
	;; [unrolled: 1-line block ×4, first 2 shown]
	global_store_dwordx4 v[40:41], v[24:27], off
	v_fma_f64 v[38:39], v[50:51], v[0:1], v[44:45]
	v_fma_f64 v[42:43], v[50:51], v[2:3], -v[46:47]
	v_add_co_u32 v50, vcc_lo, v36, s2
	v_add_co_ci_u32_e32 v51, vcc_lo, s3, v37, vcc_lo
	ds_read_b128 v[0:3], v91 offset:4928
	global_store_dwordx4 v[48:49], v[8:11], off
	global_store_dwordx4 v[36:37], v[12:15], off
	;; [unrolled: 1-line block ×3, first 2 shown]
	v_mul_f64 v[8:9], v[32:33], s[0:1]
	ds_read_b128 v[12:15], v91 offset:13552
	s_clause 0x3
	buffer_load_dword v56, off, s[40:43], 0 offset:88
	buffer_load_dword v57, off, s[40:43], 0 offset:92
	;; [unrolled: 1-line block ×4, first 2 shown]
	ds_read_b128 v[24:27], v91 offset:6160
	ds_read_b128 v[28:31], v91 offset:14784
	v_mul_f64 v[10:11], v[34:35], s[0:1]
	v_add_co_u32 v50, vcc_lo, v50, s5
	v_add_co_ci_u32_e32 v51, vcc_lo, s4, v51, vcc_lo
	v_mul_f64 v[32:33], v[38:39], s[0:1]
	ds_read_b128 v[36:39], v91 offset:16016
	s_clause 0x3
	buffer_load_dword v72, off, s[40:43], 0 offset:56
	buffer_load_dword v73, off, s[40:43], 0 offset:60
	;; [unrolled: 1-line block ×4, first 2 shown]
	v_mul_f64 v[34:35], v[42:43], s[0:1]
	s_clause 0x3
	buffer_load_dword v68, off, s[40:43], 0 offset:40
	buffer_load_dword v69, off, s[40:43], 0 offset:44
	;; [unrolled: 1-line block ×4, first 2 shown]
	s_waitcnt vmcnt(12) lgkmcnt(6)
	v_mul_f64 v[44:45], v[54:55], v[6:7]
	v_mul_f64 v[46:47], v[54:55], v[4:5]
	v_fma_f64 v[4:5], v[52:53], v[4:5], v[44:45]
	v_fma_f64 v[6:7], v[52:53], v[6:7], -v[46:47]
	v_add_co_u32 v46, vcc_lo, v50, s2
	v_add_co_ci_u32_e32 v47, vcc_lo, s3, v51, vcc_lo
	s_waitcnt vmcnt(8) lgkmcnt(5)
	v_mul_f64 v[40:41], v[58:59], v[22:23]
	v_mul_f64 v[48:49], v[58:59], v[20:21]
	s_waitcnt vmcnt(4) lgkmcnt(4)
	v_mul_f64 v[42:43], v[74:75], v[2:3]
	v_mul_f64 v[44:45], v[74:75], v[0:1]
	s_clause 0x3
	buffer_load_dword v74, off, s[40:43], 0 offset:72
	buffer_load_dword v75, off, s[40:43], 0 offset:76
	;; [unrolled: 1-line block ×4, first 2 shown]
	s_waitcnt vmcnt(4) lgkmcnt(3)
	v_mul_f64 v[52:53], v[70:71], v[14:15]
	v_mul_f64 v[54:55], v[70:71], v[12:13]
	;; [unrolled: 1-line block ×4, first 2 shown]
	v_fma_f64 v[20:21], v[56:57], v[20:21], v[40:41]
	v_fma_f64 v[22:23], v[56:57], v[22:23], -v[48:49]
	v_fma_f64 v[12:13], v[68:69], v[12:13], v[52:53]
	v_fma_f64 v[14:15], v[68:69], v[14:15], -v[54:55]
	v_mul_f64 v[12:13], v[12:13], s[0:1]
	v_mul_f64 v[14:15], v[14:15], s[0:1]
	s_waitcnt vmcnt(0) lgkmcnt(2)
	v_mul_f64 v[40:41], v[76:77], v[26:27]
	v_mul_f64 v[48:49], v[76:77], v[24:25]
	s_clause 0x3
	buffer_load_dword v76, off, s[40:43], 0 offset:152
	buffer_load_dword v77, off, s[40:43], 0 offset:156
	;; [unrolled: 1-line block ×4, first 2 shown]
	s_waitcnt vmcnt(0) lgkmcnt(1)
	v_mul_f64 v[56:57], v[78:79], v[30:31]
	v_mul_f64 v[58:59], v[78:79], v[28:29]
	s_clause 0x3
	buffer_load_dword v78, off, s[40:43], 0 offset:168
	buffer_load_dword v79, off, s[40:43], 0 offset:172
	;; [unrolled: 1-line block ×4, first 2 shown]
	s_waitcnt vmcnt(0)
	v_mul_f64 v[60:61], v[80:81], v[18:19]
	v_mul_f64 v[62:63], v[80:81], v[16:17]
	s_clause 0x3
	buffer_load_dword v80, off, s[40:43], 0 offset:200
	buffer_load_dword v81, off, s[40:43], 0 offset:204
	;; [unrolled: 1-line block ×4, first 2 shown]
	global_store_dwordx4 v[50:51], v[8:11], off
	global_store_dwordx4 v[46:47], v[32:35], off
	v_fma_f64 v[8:9], v[72:73], v[0:1], v[42:43]
	v_fma_f64 v[10:11], v[72:73], v[2:3], -v[44:45]
	v_mul_f64 v[0:1], v[20:21], s[0:1]
	v_mul_f64 v[2:3], v[22:23], s[0:1]
	v_fma_f64 v[20:21], v[74:75], v[24:25], v[40:41]
	v_fma_f64 v[22:23], v[74:75], v[26:27], -v[48:49]
	v_fma_f64 v[24:25], v[76:77], v[28:29], v[56:57]
	v_fma_f64 v[26:27], v[76:77], v[30:31], -v[58:59]
	v_add_co_u32 v32, vcc_lo, v46, s5
	v_add_co_ci_u32_e32 v33, vcc_lo, s4, v47, vcc_lo
	global_store_dwordx4 v[32:33], v[4:7], off
	v_fma_f64 v[28:29], v[78:79], v[16:17], v[60:61]
	v_fma_f64 v[30:31], v[78:79], v[18:19], -v[62:63]
	v_mul_f64 v[8:9], v[8:9], s[0:1]
	v_mul_f64 v[10:11], v[10:11], s[0:1]
	;; [unrolled: 1-line block ×8, first 2 shown]
	s_waitcnt vmcnt(0) lgkmcnt(0)
	v_mul_f64 v[64:65], v[82:83], v[38:39]
	v_mul_f64 v[66:67], v[82:83], v[36:37]
	v_fma_f64 v[34:35], v[80:81], v[36:37], v[64:65]
	v_fma_f64 v[36:37], v[80:81], v[38:39], -v[66:67]
	v_add_co_u32 v38, vcc_lo, v32, s2
	v_add_co_ci_u32_e32 v39, vcc_lo, s3, v33, vcc_lo
	v_add_co_u32 v40, vcc_lo, v38, s5
	v_add_co_ci_u32_e32 v41, vcc_lo, s4, v39, vcc_lo
	global_store_dwordx4 v[38:39], v[0:3], off
	v_add_co_u32 v42, vcc_lo, v40, s2
	v_add_co_ci_u32_e32 v43, vcc_lo, s3, v41, vcc_lo
	global_store_dwordx4 v[40:41], v[8:11], off
	v_mul_f64 v[28:29], v[34:35], s[0:1]
	v_mul_f64 v[30:31], v[36:37], s[0:1]
	v_add_co_u32 v34, vcc_lo, v42, s5
	v_add_co_ci_u32_e32 v35, vcc_lo, s4, v43, vcc_lo
	v_add_co_u32 v4, vcc_lo, v34, s2
	v_add_co_ci_u32_e32 v5, vcc_lo, s3, v35, vcc_lo
	;; [unrolled: 2-line block ×4, first 2 shown]
	global_store_dwordx4 v[42:43], v[12:15], off
	global_store_dwordx4 v[34:35], v[16:19], off
	;; [unrolled: 1-line block ×5, first 2 shown]
.LBB0_10:
	s_endpgm
	.section	.rodata,"a",@progbits
	.p2align	6, 0x0
	.amdhsa_kernel bluestein_single_back_len1078_dim1_dp_op_CI_CI
		.amdhsa_group_segment_fixed_size 51744
		.amdhsa_private_segment_fixed_size 420
		.amdhsa_kernarg_size 104
		.amdhsa_user_sgpr_count 6
		.amdhsa_user_sgpr_private_segment_buffer 1
		.amdhsa_user_sgpr_dispatch_ptr 0
		.amdhsa_user_sgpr_queue_ptr 0
		.amdhsa_user_sgpr_kernarg_segment_ptr 1
		.amdhsa_user_sgpr_dispatch_id 0
		.amdhsa_user_sgpr_flat_scratch_init 0
		.amdhsa_user_sgpr_private_segment_size 0
		.amdhsa_wavefront_size32 1
		.amdhsa_uses_dynamic_stack 0
		.amdhsa_system_sgpr_private_segment_wavefront_offset 1
		.amdhsa_system_sgpr_workgroup_id_x 1
		.amdhsa_system_sgpr_workgroup_id_y 0
		.amdhsa_system_sgpr_workgroup_id_z 0
		.amdhsa_system_sgpr_workgroup_info 0
		.amdhsa_system_vgpr_workitem_id 0
		.amdhsa_next_free_vgpr 256
		.amdhsa_next_free_sgpr 44
		.amdhsa_reserve_vcc 1
		.amdhsa_reserve_flat_scratch 0
		.amdhsa_float_round_mode_32 0
		.amdhsa_float_round_mode_16_64 0
		.amdhsa_float_denorm_mode_32 3
		.amdhsa_float_denorm_mode_16_64 3
		.amdhsa_dx10_clamp 1
		.amdhsa_ieee_mode 1
		.amdhsa_fp16_overflow 0
		.amdhsa_workgroup_processor_mode 1
		.amdhsa_memory_ordered 1
		.amdhsa_forward_progress 0
		.amdhsa_shared_vgpr_count 0
		.amdhsa_exception_fp_ieee_invalid_op 0
		.amdhsa_exception_fp_denorm_src 0
		.amdhsa_exception_fp_ieee_div_zero 0
		.amdhsa_exception_fp_ieee_overflow 0
		.amdhsa_exception_fp_ieee_underflow 0
		.amdhsa_exception_fp_ieee_inexact 0
		.amdhsa_exception_int_div_zero 0
	.end_amdhsa_kernel
	.text
.Lfunc_end0:
	.size	bluestein_single_back_len1078_dim1_dp_op_CI_CI, .Lfunc_end0-bluestein_single_back_len1078_dim1_dp_op_CI_CI
                                        ; -- End function
	.section	.AMDGPU.csdata,"",@progbits
; Kernel info:
; codeLenInByte = 27780
; NumSgprs: 46
; NumVgprs: 256
; ScratchSize: 420
; MemoryBound: 0
; FloatMode: 240
; IeeeMode: 1
; LDSByteSize: 51744 bytes/workgroup (compile time only)
; SGPRBlocks: 5
; VGPRBlocks: 31
; NumSGPRsForWavesPerEU: 46
; NumVGPRsForWavesPerEU: 256
; Occupancy: 4
; WaveLimiterHint : 1
; COMPUTE_PGM_RSRC2:SCRATCH_EN: 1
; COMPUTE_PGM_RSRC2:USER_SGPR: 6
; COMPUTE_PGM_RSRC2:TRAP_HANDLER: 0
; COMPUTE_PGM_RSRC2:TGID_X_EN: 1
; COMPUTE_PGM_RSRC2:TGID_Y_EN: 0
; COMPUTE_PGM_RSRC2:TGID_Z_EN: 0
; COMPUTE_PGM_RSRC2:TIDIG_COMP_CNT: 0
	.text
	.p2alignl 6, 3214868480
	.fill 48, 4, 3214868480
	.type	__hip_cuid_66ad2dcb7a3a983b,@object ; @__hip_cuid_66ad2dcb7a3a983b
	.section	.bss,"aw",@nobits
	.globl	__hip_cuid_66ad2dcb7a3a983b
__hip_cuid_66ad2dcb7a3a983b:
	.byte	0                               ; 0x0
	.size	__hip_cuid_66ad2dcb7a3a983b, 1

	.ident	"AMD clang version 19.0.0git (https://github.com/RadeonOpenCompute/llvm-project roc-6.4.0 25133 c7fe45cf4b819c5991fe208aaa96edf142730f1d)"
	.section	".note.GNU-stack","",@progbits
	.addrsig
	.addrsig_sym __hip_cuid_66ad2dcb7a3a983b
	.amdgpu_metadata
---
amdhsa.kernels:
  - .args:
      - .actual_access:  read_only
        .address_space:  global
        .offset:         0
        .size:           8
        .value_kind:     global_buffer
      - .actual_access:  read_only
        .address_space:  global
        .offset:         8
        .size:           8
        .value_kind:     global_buffer
      - .actual_access:  read_only
        .address_space:  global
        .offset:         16
        .size:           8
        .value_kind:     global_buffer
      - .actual_access:  read_only
        .address_space:  global
        .offset:         24
        .size:           8
        .value_kind:     global_buffer
      - .actual_access:  read_only
        .address_space:  global
        .offset:         32
        .size:           8
        .value_kind:     global_buffer
      - .offset:         40
        .size:           8
        .value_kind:     by_value
      - .address_space:  global
        .offset:         48
        .size:           8
        .value_kind:     global_buffer
      - .address_space:  global
        .offset:         56
        .size:           8
        .value_kind:     global_buffer
      - .address_space:  global
        .offset:         64
        .size:           8
        .value_kind:     global_buffer
      - .address_space:  global
        .offset:         72
        .size:           8
        .value_kind:     global_buffer
      - .offset:         80
        .size:           4
        .value_kind:     by_value
      - .address_space:  global
        .offset:         88
        .size:           8
        .value_kind:     global_buffer
      - .address_space:  global
        .offset:         96
        .size:           8
        .value_kind:     global_buffer
    .group_segment_fixed_size: 51744
    .kernarg_segment_align: 8
    .kernarg_segment_size: 104
    .language:       OpenCL C
    .language_version:
      - 2
      - 0
    .max_flat_workgroup_size: 231
    .name:           bluestein_single_back_len1078_dim1_dp_op_CI_CI
    .private_segment_fixed_size: 420
    .sgpr_count:     46
    .sgpr_spill_count: 0
    .symbol:         bluestein_single_back_len1078_dim1_dp_op_CI_CI.kd
    .uniform_work_group_size: 1
    .uses_dynamic_stack: false
    .vgpr_count:     256
    .vgpr_spill_count: 105
    .wavefront_size: 32
    .workgroup_processor_mode: 1
amdhsa.target:   amdgcn-amd-amdhsa--gfx1030
amdhsa.version:
  - 1
  - 2
...

	.end_amdgpu_metadata
